;; amdgpu-corpus repo=ROCm/flash-attention kind=compiled arch=gfx950 opt=O3
	.amdgcn_target "amdgcn-amd-amdhsa--gfx950"
	.amdhsa_code_object_version 6
	.section	.text._ZN7ck_tileL11flush_cacheEv,"axG",@progbits,_ZN7ck_tileL11flush_cacheEv,comdat
	.globl	_ZN7ck_tileL11flush_cacheEv     ; -- Begin function _ZN7ck_tileL11flush_cacheEv
	.p2align	8
	.type	_ZN7ck_tileL11flush_cacheEv,@function
_ZN7ck_tileL11flush_cacheEv:            ; @_ZN7ck_tileL11flush_cacheEv
; %bb.0:
	;;#ASMSTART
	s_icache_inv 
	s_nop 0 
	s_nop 0 
	;; [unrolled: 1-line block ×16, first 2 shown]
	
	;;#ASMEND
	s_endpgm
	.section	.rodata,"a",@progbits
	.p2align	6, 0x0
	.amdhsa_kernel _ZN7ck_tileL11flush_cacheEv
		.amdhsa_group_segment_fixed_size 0
		.amdhsa_private_segment_fixed_size 0
		.amdhsa_kernarg_size 0
		.amdhsa_user_sgpr_count 0
		.amdhsa_user_sgpr_dispatch_ptr 0
		.amdhsa_user_sgpr_queue_ptr 0
		.amdhsa_user_sgpr_kernarg_segment_ptr 0
		.amdhsa_user_sgpr_dispatch_id 0
		.amdhsa_user_sgpr_kernarg_preload_length 0
		.amdhsa_user_sgpr_kernarg_preload_offset 0
		.amdhsa_user_sgpr_private_segment_size 0
		.amdhsa_uses_dynamic_stack 0
		.amdhsa_enable_private_segment 0
		.amdhsa_system_sgpr_workgroup_id_x 1
		.amdhsa_system_sgpr_workgroup_id_y 0
		.amdhsa_system_sgpr_workgroup_id_z 0
		.amdhsa_system_sgpr_workgroup_info 0
		.amdhsa_system_vgpr_workitem_id 0
		.amdhsa_next_free_vgpr 1
		.amdhsa_next_free_sgpr 0
		.amdhsa_accum_offset 4
		.amdhsa_reserve_vcc 0
		.amdhsa_float_round_mode_32 0
		.amdhsa_float_round_mode_16_64 0
		.amdhsa_float_denorm_mode_32 0
		.amdhsa_float_denorm_mode_16_64 3
		.amdhsa_dx10_clamp 1
		.amdhsa_ieee_mode 1
		.amdhsa_fp16_overflow 0
		.amdhsa_tg_split 0
		.amdhsa_exception_fp_ieee_invalid_op 0
		.amdhsa_exception_fp_denorm_src 0
		.amdhsa_exception_fp_ieee_div_zero 0
		.amdhsa_exception_fp_ieee_overflow 0
		.amdhsa_exception_fp_ieee_underflow 0
		.amdhsa_exception_fp_ieee_inexact 0
		.amdhsa_exception_int_div_zero 0
	.end_amdhsa_kernel
	.section	.text._ZN7ck_tileL11flush_cacheEv,"axG",@progbits,_ZN7ck_tileL11flush_cacheEv,comdat
.Lfunc_end0:
	.size	_ZN7ck_tileL11flush_cacheEv, .Lfunc_end0-_ZN7ck_tileL11flush_cacheEv
                                        ; -- End function
	.set _ZN7ck_tileL11flush_cacheEv.num_vgpr, 0
	.set _ZN7ck_tileL11flush_cacheEv.num_agpr, 0
	.set _ZN7ck_tileL11flush_cacheEv.numbered_sgpr, 0
	.set _ZN7ck_tileL11flush_cacheEv.num_named_barrier, 0
	.set _ZN7ck_tileL11flush_cacheEv.private_seg_size, 0
	.set _ZN7ck_tileL11flush_cacheEv.uses_vcc, 0
	.set _ZN7ck_tileL11flush_cacheEv.uses_flat_scratch, 0
	.set _ZN7ck_tileL11flush_cacheEv.has_dyn_sized_stack, 0
	.set _ZN7ck_tileL11flush_cacheEv.has_recursion, 0
	.set _ZN7ck_tileL11flush_cacheEv.has_indirect_call, 0
	.section	.AMDGPU.csdata,"",@progbits
; Kernel info:
; codeLenInByte = 276
; TotalNumSgprs: 6
; NumVgprs: 0
; NumAgprs: 0
; TotalNumVgprs: 0
; ScratchSize: 0
; MemoryBound: 0
; FloatMode: 192
; IeeeMode: 1
; LDSByteSize: 0 bytes/workgroup (compile time only)
; SGPRBlocks: 0
; VGPRBlocks: 0
; NumSGPRsForWavesPerEU: 6
; NumVGPRsForWavesPerEU: 1
; AccumOffset: 4
; Occupancy: 8
; WaveLimiterHint : 0
; COMPUTE_PGM_RSRC2:SCRATCH_EN: 0
; COMPUTE_PGM_RSRC2:USER_SGPR: 0
; COMPUTE_PGM_RSRC2:TRAP_HANDLER: 0
; COMPUTE_PGM_RSRC2:TGID_X_EN: 1
; COMPUTE_PGM_RSRC2:TGID_Y_EN: 0
; COMPUTE_PGM_RSRC2:TGID_Z_EN: 0
; COMPUTE_PGM_RSRC2:TIDIG_COMP_CNT: 0
; COMPUTE_PGM_RSRC3_GFX90A:ACCUM_OFFSET: 0
; COMPUTE_PGM_RSRC3_GFX90A:TG_SPLIT: 0
	.section	.text._ZN7ck_tile6kentryINS_6gfx9_tELi3ENS_20FmhaFwdSplitKVKernelINS_33BlockFmhaFwdSplitKVPipelineQRKSVSINS_34BlockFmhaFwdSplitKVPipelineProblemIDF16bDF16bDF16bffDF16bfDF16bffNS_13TileFmhaShapeINS_8sequenceIJLi64ELi64ELi32ELi64ELi32ELi64EEEENS6_IJLi4ELi1ELi1EEEENS6_IJLi16ELi16ELi16EEEES8_S9_Lb1EEELb0ENS_17ComposedAttentionILj4ELb1EEENS_30SimplifiedGenericAttentionMaskILb1EEENS_24TileFmhaFwdSplitKVTraitsILb1ELb0ELb0ELb0ELb1ELNS_22BlockAttentionBiasEnumE0ELb0ELb1ELb0ELb0ELb1ELb0ELin1ELb0EEEEENS_46BlockFmhaFwdSplitKVPipelineQRKSVSDefaultPolicyEEENS_17Default2DEpilogueINS_24Default2DEpilogueProblemIffLb0ELb0ELb1EEEvEEEEJNSP_14BatchModeKargsEEEENSt9enable_ifIXnt26kattr_no_packed_fp32_ops_vIT_EEvE4typeEDpT2_,"axG",@progbits,_ZN7ck_tile6kentryINS_6gfx9_tELi3ENS_20FmhaFwdSplitKVKernelINS_33BlockFmhaFwdSplitKVPipelineQRKSVSINS_34BlockFmhaFwdSplitKVPipelineProblemIDF16bDF16bDF16bffDF16bfDF16bffNS_13TileFmhaShapeINS_8sequenceIJLi64ELi64ELi32ELi64ELi32ELi64EEEENS6_IJLi4ELi1ELi1EEEENS6_IJLi16ELi16ELi16EEEES8_S9_Lb1EEELb0ENS_17ComposedAttentionILj4ELb1EEENS_30SimplifiedGenericAttentionMaskILb1EEENS_24TileFmhaFwdSplitKVTraitsILb1ELb0ELb0ELb0ELb1ELNS_22BlockAttentionBiasEnumE0ELb0ELb1ELb0ELb0ELb1ELb0ELin1ELb0EEEEENS_46BlockFmhaFwdSplitKVPipelineQRKSVSDefaultPolicyEEENS_17Default2DEpilogueINS_24Default2DEpilogueProblemIffLb0ELb0ELb1EEEvEEEEJNSP_14BatchModeKargsEEEENSt9enable_ifIXnt26kattr_no_packed_fp32_ops_vIT_EEvE4typeEDpT2_,comdat
	.protected	_ZN7ck_tile6kentryINS_6gfx9_tELi3ENS_20FmhaFwdSplitKVKernelINS_33BlockFmhaFwdSplitKVPipelineQRKSVSINS_34BlockFmhaFwdSplitKVPipelineProblemIDF16bDF16bDF16bffDF16bfDF16bffNS_13TileFmhaShapeINS_8sequenceIJLi64ELi64ELi32ELi64ELi32ELi64EEEENS6_IJLi4ELi1ELi1EEEENS6_IJLi16ELi16ELi16EEEES8_S9_Lb1EEELb0ENS_17ComposedAttentionILj4ELb1EEENS_30SimplifiedGenericAttentionMaskILb1EEENS_24TileFmhaFwdSplitKVTraitsILb1ELb0ELb0ELb0ELb1ELNS_22BlockAttentionBiasEnumE0ELb0ELb1ELb0ELb0ELb1ELb0ELin1ELb0EEEEENS_46BlockFmhaFwdSplitKVPipelineQRKSVSDefaultPolicyEEENS_17Default2DEpilogueINS_24Default2DEpilogueProblemIffLb0ELb0ELb1EEEvEEEEJNSP_14BatchModeKargsEEEENSt9enable_ifIXnt26kattr_no_packed_fp32_ops_vIT_EEvE4typeEDpT2_ ; -- Begin function _ZN7ck_tile6kentryINS_6gfx9_tELi3ENS_20FmhaFwdSplitKVKernelINS_33BlockFmhaFwdSplitKVPipelineQRKSVSINS_34BlockFmhaFwdSplitKVPipelineProblemIDF16bDF16bDF16bffDF16bfDF16bffNS_13TileFmhaShapeINS_8sequenceIJLi64ELi64ELi32ELi64ELi32ELi64EEEENS6_IJLi4ELi1ELi1EEEENS6_IJLi16ELi16ELi16EEEES8_S9_Lb1EEELb0ENS_17ComposedAttentionILj4ELb1EEENS_30SimplifiedGenericAttentionMaskILb1EEENS_24TileFmhaFwdSplitKVTraitsILb1ELb0ELb0ELb0ELb1ELNS_22BlockAttentionBiasEnumE0ELb0ELb1ELb0ELb0ELb1ELb0ELin1ELb0EEEEENS_46BlockFmhaFwdSplitKVPipelineQRKSVSDefaultPolicyEEENS_17Default2DEpilogueINS_24Default2DEpilogueProblemIffLb0ELb0ELb1EEEvEEEEJNSP_14BatchModeKargsEEEENSt9enable_ifIXnt26kattr_no_packed_fp32_ops_vIT_EEvE4typeEDpT2_
	.globl	_ZN7ck_tile6kentryINS_6gfx9_tELi3ENS_20FmhaFwdSplitKVKernelINS_33BlockFmhaFwdSplitKVPipelineQRKSVSINS_34BlockFmhaFwdSplitKVPipelineProblemIDF16bDF16bDF16bffDF16bfDF16bffNS_13TileFmhaShapeINS_8sequenceIJLi64ELi64ELi32ELi64ELi32ELi64EEEENS6_IJLi4ELi1ELi1EEEENS6_IJLi16ELi16ELi16EEEES8_S9_Lb1EEELb0ENS_17ComposedAttentionILj4ELb1EEENS_30SimplifiedGenericAttentionMaskILb1EEENS_24TileFmhaFwdSplitKVTraitsILb1ELb0ELb0ELb0ELb1ELNS_22BlockAttentionBiasEnumE0ELb0ELb1ELb0ELb0ELb1ELb0ELin1ELb0EEEEENS_46BlockFmhaFwdSplitKVPipelineQRKSVSDefaultPolicyEEENS_17Default2DEpilogueINS_24Default2DEpilogueProblemIffLb0ELb0ELb1EEEvEEEEJNSP_14BatchModeKargsEEEENSt9enable_ifIXnt26kattr_no_packed_fp32_ops_vIT_EEvE4typeEDpT2_
	.p2align	8
	.type	_ZN7ck_tile6kentryINS_6gfx9_tELi3ENS_20FmhaFwdSplitKVKernelINS_33BlockFmhaFwdSplitKVPipelineQRKSVSINS_34BlockFmhaFwdSplitKVPipelineProblemIDF16bDF16bDF16bffDF16bfDF16bffNS_13TileFmhaShapeINS_8sequenceIJLi64ELi64ELi32ELi64ELi32ELi64EEEENS6_IJLi4ELi1ELi1EEEENS6_IJLi16ELi16ELi16EEEES8_S9_Lb1EEELb0ENS_17ComposedAttentionILj4ELb1EEENS_30SimplifiedGenericAttentionMaskILb1EEENS_24TileFmhaFwdSplitKVTraitsILb1ELb0ELb0ELb0ELb1ELNS_22BlockAttentionBiasEnumE0ELb0ELb1ELb0ELb0ELb1ELb0ELin1ELb0EEEEENS_46BlockFmhaFwdSplitKVPipelineQRKSVSDefaultPolicyEEENS_17Default2DEpilogueINS_24Default2DEpilogueProblemIffLb0ELb0ELb1EEEvEEEEJNSP_14BatchModeKargsEEEENSt9enable_ifIXnt26kattr_no_packed_fp32_ops_vIT_EEvE4typeEDpT2_,@function
_ZN7ck_tile6kentryINS_6gfx9_tELi3ENS_20FmhaFwdSplitKVKernelINS_33BlockFmhaFwdSplitKVPipelineQRKSVSINS_34BlockFmhaFwdSplitKVPipelineProblemIDF16bDF16bDF16bffDF16bfDF16bffNS_13TileFmhaShapeINS_8sequenceIJLi64ELi64ELi32ELi64ELi32ELi64EEEENS6_IJLi4ELi1ELi1EEEENS6_IJLi16ELi16ELi16EEEES8_S9_Lb1EEELb0ENS_17ComposedAttentionILj4ELb1EEENS_30SimplifiedGenericAttentionMaskILb1EEENS_24TileFmhaFwdSplitKVTraitsILb1ELb0ELb0ELb0ELb1ELNS_22BlockAttentionBiasEnumE0ELb0ELb1ELb0ELb0ELb1ELb0ELin1ELb0EEEEENS_46BlockFmhaFwdSplitKVPipelineQRKSVSDefaultPolicyEEENS_17Default2DEpilogueINS_24Default2DEpilogueProblemIffLb0ELb0ELb1EEEvEEEEJNSP_14BatchModeKargsEEEENSt9enable_ifIXnt26kattr_no_packed_fp32_ops_vIT_EEvE4typeEDpT2_: ; @_ZN7ck_tile6kentryINS_6gfx9_tELi3ENS_20FmhaFwdSplitKVKernelINS_33BlockFmhaFwdSplitKVPipelineQRKSVSINS_34BlockFmhaFwdSplitKVPipelineProblemIDF16bDF16bDF16bffDF16bfDF16bffNS_13TileFmhaShapeINS_8sequenceIJLi64ELi64ELi32ELi64ELi32ELi64EEEENS6_IJLi4ELi1ELi1EEEENS6_IJLi16ELi16ELi16EEEES8_S9_Lb1EEELb0ENS_17ComposedAttentionILj4ELb1EEENS_30SimplifiedGenericAttentionMaskILb1EEENS_24TileFmhaFwdSplitKVTraitsILb1ELb0ELb0ELb0ELb1ELNS_22BlockAttentionBiasEnumE0ELb0ELb1ELb0ELb0ELb1ELb0ELin1ELb0EEEEENS_46BlockFmhaFwdSplitKVPipelineQRKSVSDefaultPolicyEEENS_17Default2DEpilogueINS_24Default2DEpilogueProblemIffLb0ELb0ELb1EEEvEEEEJNSP_14BatchModeKargsEEEENSt9enable_ifIXnt26kattr_no_packed_fp32_ops_vIT_EEvE4typeEDpT2_
; %bb.0:
	s_load_dwordx4 s[36:39], s[0:1], 0x34
	s_load_dwordx16 s[8:23], s[0:1], 0x48
	s_load_dwordx4 s[40:43], s[0:1], 0x20
	s_mov_b32 s34, s3
	s_waitcnt lgkmcnt(0)
	s_add_i32 s5, s39, 63
	s_abs_i32 s3, s9
	v_cvt_f32_u32_e32 v1, s3
	s_ashr_i32 s6, s5, 31
	s_sub_i32 s7, 0, s3
	s_lshr_b32 s6, s6, 26
	v_rcp_iflag_f32_e32 v1, v1
	s_add_i32 s5, s5, s6
	s_ashr_i32 s6, s2, 31
	s_ashr_i32 s46, s9, 31
	v_mul_f32_e32 v1, 0x4f7ffffe, v1
	v_cvt_u32_f32_e32 v1, v1
	s_xor_b32 s33, s6, s46
	s_abs_i32 s6, s2
	s_ashr_i32 s5, s5, 6
	v_readfirstlane_b32 s47, v1
	s_mul_i32 s7, s7, s47
	s_mul_hi_u32 s7, s47, s7
	s_add_i32 s47, s47, s7
	s_mul_hi_u32 s7, s6, s47
	s_mul_i32 s24, s7, s3
	s_sub_i32 s6, s6, s24
	s_add_i32 s24, s7, 1
	s_sub_i32 s25, s6, s3
	s_cmp_ge_u32 s6, s3
	s_cselect_b32 s7, s24, s7
	s_cselect_b32 s6, s25, s6
	s_add_i32 s24, s7, 1
	s_cmp_ge_u32 s6, s3
	s_cselect_b32 s35, s24, s7
	s_abs_i32 s44, s5
	v_cvt_f32_u32_e32 v1, s44
	s_sub_i32 s45, 0, s44
	s_xor_b32 s35, s35, s33
	s_sub_i32 s59, s35, s33
	v_rcp_iflag_f32_e32 v1, v1
	s_abs_i32 s35, s59
	s_xor_b32 s33, s59, s5
	s_ashr_i32 s33, s33, 31
	v_mul_f32_e32 v1, 0x4f7ffffe, v1
	v_cvt_u32_f32_e32 v1, v1
	s_load_dwordx8 s[24:31], s[0:1], 0x0
	s_load_dwordx2 s[6:7], s[0:1], 0x90
	s_load_dwordx4 s[48:51], s[0:1], 0xa8
	v_readfirstlane_b32 s52, v1
	s_mul_i32 s45, s45, s52
	s_mul_hi_u32 s45, s52, s45
	s_add_i32 s52, s52, s45
	s_mul_hi_u32 s45, s35, s52
	s_mul_i32 s52, s45, s44
	s_sub_i32 s35, s35, s52
	s_add_i32 s52, s45, 1
	s_sub_i32 s53, s35, s44
	s_cmp_ge_u32 s35, s44
	v_cvt_f32_u32_e32 v1, s9
	s_cselect_b32 s45, s52, s45
	s_cselect_b32 s35, s53, s35
	s_add_i32 s52, s45, 1
	s_cmp_ge_u32 s35, s44
	s_cselect_b32 s35, s52, s45
	s_load_dword s52, s[0:1], 0xc0
	s_load_dword s44, s[0:1], 0xd0
	v_rcp_iflag_f32_e32 v1, v1
	s_xor_b32 s35, s35, s33
	s_sub_i32 s35, s35, s33
	s_mul_i32 s5, s35, s5
	v_mul_f32_e32 v1, 0x4f7ffffe, v1
	s_sub_i32 s33, s59, s5
	s_waitcnt lgkmcnt(0)
	s_lshr_b32 s5, s44, 16
	v_cvt_u32_f32_e32 v1, v1
	s_cmp_lg_u32 s5, 0
	s_cselect_b64 s[44:45], -1, 0
	s_cmp_lg_u64 s[44:45], 0
	s_addc_u32 s5, s52, 0
	s_sub_i32 s44, 0, s9
	v_readfirstlane_b32 s45, v1
	s_mul_i32 s44, s44, s45
	s_mul_hi_u32 s44, s45, s44
	s_add_i32 s45, s45, s44
	s_mul_hi_u32 s44, s5, s45
	s_mul_i32 s45, s44, s9
	s_sub_i32 s5, s5, s45
	s_add_i32 s45, s44, 1
	s_sub_i32 s52, s5, s9
	s_cmp_ge_u32 s5, s9
	s_cselect_b32 s44, s45, s44
	s_cselect_b32 s5, s52, s5
	s_add_i32 s45, s44, 1
	s_cmp_ge_u32 s5, s9
	s_cselect_b32 s44, s45, s44
	s_not_b32 s5, s35
	s_add_i32 s44, s44, s5
	s_cmp_eq_u64 s[42:43], 0
	s_cbranch_scc1 .LBB1_2
; %bb.1:
	s_ashr_i32 s35, s34, 31
	s_lshl_b64 s[52:53], s[34:35], 2
	s_add_u32 s42, s42, s52
	s_addc_u32 s43, s43, s53
	s_load_dword s5, s[42:43], 0x0
	v_mov_b32_e32 v1, s10
	s_waitcnt lgkmcnt(0)
	v_mov_b32_e32 v2, s5
	v_div_scale_f32 v3, s[42:43], s10, s10, v2
	v_rcp_f32_e32 v4, v3
	v_div_scale_f32 v1, vcc, s5, v1, s5
	s_setreg_imm32_b32 hwreg(HW_REG_MODE, 4, 2), 3
	v_fma_f32 v5, -v3, v4, 1.0
	v_fmac_f32_e32 v4, v5, v4
	v_mul_f32_e32 v5, v1, v4
	v_fma_f32 v6, -v3, v5, v1
	v_fmac_f32_e32 v5, v6, v4
	v_fma_f32 v1, -v3, v5, v1
	s_setreg_imm32_b32 hwreg(HW_REG_MODE, 4, 2), 0
	v_div_fmas_f32 v1, v1, v4, v5
	v_div_fixup_f32 v10, v1, s10, v2
	s_branch .LBB1_3
.LBB1_2:
	v_mov_b32_e32 v10, 0xff800000
.LBB1_3:
	s_load_dwordx2 s[42:43], s[0:1], 0xa0
	s_load_dword s35, s[0:1], 0xb8
	s_ashr_i32 s5, s4, 31
	s_cmp_eq_u64 s[6:7], 0
	s_cbranch_scc1 .LBB1_11
; %bb.4:
	s_lshl_b64 s[52:53], s[4:5], 2
	s_add_u32 s6, s6, s52
	s_addc_u32 s7, s7, s53
	s_load_dword s56, s[6:7], 0x0
	s_nop 0
	s_load_dword s6, s[0:1], 0x8c
	s_waitcnt lgkmcnt(0)
	s_cmp_eq_u64 s[42:43], 0
	s_cbranch_scc1 .LBB1_6
.LBB1_5:
	s_lshl_b64 s[52:53], s[4:5], 2
	s_add_u32 s42, s42, s52
	s_addc_u32 s43, s43, s53
	s_load_dword s37, s[42:43], 0x0
.LBB1_6:
	s_waitcnt lgkmcnt(0)
	s_sub_i32 s7, s36, s37
	s_sub_i32 s5, s37, s36
	s_add_i32 s7, s7, 1
	s_cmp_eq_u32 s6, 1
	s_cselect_b32 s62, 1, s7
	s_add_i32 s5, s5, 1
	s_cmp_eq_u32 s6, 1
	s_cselect_b32 s63, 1, s5
	s_add_i32 s43, s36, -1
	s_add_i32 s57, s37, -1
	s_cmp_eq_u32 s6, 1
	s_cselect_b32 s64, s43, s57
	s_cselect_b32 s65, s57, s43
	s_add_i32 s38, s38, -1
	s_mul_hi_i32 s7, s51, s4
	s_mul_i32 s6, s51, s4
	s_mul_i32 s59, s59, s9
	s_lshl_b32 s5, s44, 6
	s_add_u32 s51, s38, 1
	s_add_i32 s38, s39, -1
	s_mul_i32 s39, s43, s11
	s_mul_hi_i32 s45, s15, s34
	s_mul_i32 s44, s15, s34
	s_sub_i32 s42, s2, s59
	s_abs_i32 s58, s8
	s_add_u32 s38, s38, 1
	s_add_i32 s39, s39, s51
	s_lshl_b64 s[44:45], s[44:45], 1
	s_mul_hi_i32 s53, s48, s4
	s_mul_i32 s52, s48, s4
	s_add_u32 s15, s24, s44
	s_mul_hi_i32 s55, s18, s34
	s_mul_i32 s54, s18, s34
	s_addc_u32 s18, s25, s45
	s_lshl_b64 s[24:25], s[52:53], 1
	s_add_u32 s52, s15, s24
	s_addc_u32 s53, s18, s25
	s_lshl_b64 s[24:25], s[54:55], 2
	s_add_u32 s15, s30, s24
	s_addc_u32 s18, s31, s25
	s_lshl_b64 s[6:7], s[6:7], 2
	s_mul_i32 s60, s42, s20
	s_add_u32 s15, s15, s6
	s_addc_u32 s18, s18, s7
	s_ashr_i32 s61, s60, 31
	s_lshl_b64 s[6:7], s[60:61], 2
	s_add_u32 s44, s15, s6
	s_addc_u32 s45, s18, s7
	s_cmp_lt_i32 s22, 0
	s_cselect_b32 s18, s64, s22
	s_cmp_lt_i32 s23, 0
	v_readfirstlane_b32 s6, v0
	s_cselect_b32 s15, s65, s23
	v_mbcnt_lo_u32_b32 v1, -1, 0
	s_lshr_b32 s6, s6, 2
	v_mbcnt_hi_u32_b32 v1, -1, v1
	s_and_b32 s6, s6, 0x3ffffff0
	v_and_b32_e32 v33, 15, v1
	s_add_i32 s6, s6, s5
	v_lshrrev_b32_e32 v47, 2, v1
	v_or_b32_e32 v2, s6, v33
	v_and_b32_e32 v45, 28, v47
	v_mul_lo_u32 v2, v2, s11
	v_add_lshl_u32 v2, v2, v45, 1
	s_lshl_b32 s54, s39, 1
	s_mov_b32 s55, 0x20000
	buffer_load_dwordx2 v[34:35], v2, s[52:55], 0 offen
	buffer_load_dwordx2 v[36:37], v2, s[52:55], 0 offen offset:32
	buffer_load_dwordx2 v[38:39], v2, s[52:55], 0 offen offset:64
	;; [unrolled: 1-line block ×3, first 2 shown]
	s_add_i32 s18, s18, s62
	s_add_i32 s15, s15, s63
	s_sub_i32 s6, s5, s18
	s_max_i32 s6, s6, -1
	s_add_i32 s11, s15, s5
	s_add_i32 s24, s6, 1
	;; [unrolled: 1-line block ×3, first 2 shown]
	s_min_i32 s6, s6, s37
	s_add_i32 s6, s6, 63
	s_ashr_i32 s7, s6, 31
	s_lshr_b32 s7, s7, 26
	s_add_i32 s25, s6, s7
	s_add_i32 s6, s57, s9
	s_ashr_i32 s7, s6, 31
	s_abs_i32 s6, s6
	s_mul_hi_u32 s9, s6, s47
	v_cvt_f32_u32_e32 v2, s58
	s_mul_i32 s20, s9, s3
	s_sub_i32 s6, s6, s20
	s_andn2_b32 s24, s24, 63
	s_andn2_b32 s25, s25, 63
	s_xor_b32 s7, s7, s46
	s_add_i32 s20, s9, 1
	s_sub_i32 s22, s6, s3
	s_cmp_ge_u32 s6, s3
	v_rcp_iflag_f32_e32 v2, v2
	s_cselect_b32 s9, s20, s9
	s_cselect_b32 s6, s22, s6
	s_add_i32 s20, s9, 1
	s_cmp_ge_u32 s6, s3
	s_cselect_b32 s3, s20, s9
	v_mul_f32_e32 v2, 0x4f7ffffe, v2
	s_xor_b32 s3, s3, s7
	v_cvt_u32_f32_e32 v2, v2
	s_sub_i32 s3, s3, s7
	s_max_i32 s30, s3, 1
	s_mul_i32 s9, s30, s42
	s_add_i32 s3, s9, s30
	v_readfirstlane_b32 s23, v2
	v_mov_b32_e32 v2, s37
	v_mov_b32_e32 v3, s3
	s_max_i32 s20, s24, s9
	v_min3_i32 v2, s25, v2, v3
	s_mov_b32 s3, 0x8000003f
	v_readfirstlane_b32 s22, v2
	v_sub_u32_e32 v2, s20, v2
	v_cmp_lt_u32_e32 vcc, s3, v2
	s_mov_b64 s[6:7], -1
	s_cbranch_vccnz .LBB1_8
; %bb.7:
	v_readfirstlane_b32 s3, v0
	s_lshr_b32 s3, s3, 2
	s_and_b32 s3, s3, 0x3ffffff0
	v_or_b32_e32 v3, s3, v33
	v_add_u32_e32 v3, s5, v3
	v_bfrev_b32_e32 v4, 1
	v_cmp_gt_i32_e32 vcc, s36, v3
	v_mul_f32_e32 v2, s10, v10
	s_lshl_b32 s46, s36, 2
	v_cndmask_b32_e64 v4, v4, 0, vcc
	s_mov_b32 s47, s55
	v_lshl_add_u32 v3, v3, 2, v4
	s_mov_b64 s[6:7], 0
	buffer_store_dword v2, v3, s[44:47], 0 offen
.LBB1_8:
	v_mov_b32_e32 v5, 0
	s_andn2_b64 vcc, exec, s[6:7]
	v_mov_b32_e32 v4, 0
	v_mov_b32_e32 v3, 0
	;; [unrolled: 1-line block ×15, first 2 shown]
	s_cbranch_vccnz .LBB1_19
; %bb.9:
	s_sub_i32 s3, 0, s58
	s_mul_i32 s3, s3, s23
	s_mul_hi_u32 s3, s23, s3
	s_add_i32 s23, s23, s3
	s_load_dwordx2 s[0:1], s[0:1], 0x98
	s_mov_b32 s3, 0x7f800000
	v_cmp_neq_f32_e64 s[6:7], |v10|, s3
	v_cmp_lt_i32_e32 vcc, -1, v10
	s_mov_b32 s52, 0x652b82fe
	s_abs_i32 s46, s34
	s_ashr_i32 s47, s34, 31
	s_ashr_i32 s8, s8, 31
	s_or_b64 s[6:7], s[6:7], vcc
	v_cvt_f64_f32_e32 v[2:3], v10
	s_mov_b32 s53, 0x3ff71547
	s_cmp_eq_u32 s2, s59
	v_mul_f64 v[2:3], v[2:3], s[52:53]
	s_mul_hi_u32 s31, s46, s23
	s_cselect_b64 s[2:3], -1, 0
	s_mov_b32 s23, 0
	v_cvt_f32_f64_e32 v2, v[2:3]
	s_cmp_lt_i32 s42, 1
	s_mov_b32 s39, 0xff800000
	s_cbranch_scc1 .LBB1_12
; %bb.10:
	s_sub_i32 s2, s9, s30
	v_mov_b32_e32 v3, s37
	v_mov_b32_e32 v4, s9
	s_max_u32 s2, s24, s2
	v_min3_i32 v3, s25, v3, v4
	v_cmp_ge_i32_e32 vcc, s2, v3
	v_mov_b32_e32 v3, 0xff800000
	s_and_b64 vcc, s[6:7], vcc
	v_cndmask_b32_e32 v71, v3, v2, vcc
	v_cndmask_b32_e64 v54, 0, 1.0, vcc
	s_branch .LBB1_13
.LBB1_11:
	s_mov_b32 s56, s4
	s_load_dword s6, s[0:1], 0x8c
	s_waitcnt lgkmcnt(0)
	s_cmp_eq_u64 s[42:43], 0
	s_cbranch_scc0 .LBB1_5
	s_branch .LBB1_6
.LBB1_12:
	s_and_b64 vcc, s[2:3], s[6:7]
	v_mov_b32_e32 v3, 0xff800000
	v_cndmask_b32_e64 v54, 0, 1.0, vcc
	v_cndmask_b32_e32 v71, v3, v2, vcc
.LBB1_13:
	s_mul_i32 s3, s31, s58
	s_sub_i32 s3, s46, s3
	s_xor_b32 s2, s47, s8
	s_add_i32 s6, s31, 1
	s_sub_i32 s7, s3, s58
	s_cmp_ge_u32 s3, s58
	s_cselect_b32 s6, s6, s31
	s_cselect_b32 s3, s7, s3
	s_add_i32 s7, s6, 1
	s_cmp_ge_u32 s3, s58
	s_cselect_b32 s3, s7, s6
	s_xor_b32 s3, s3, s2
	s_sub_i32 s6, s3, s2
	s_mul_hi_i32 s3, s6, s16
	s_mul_i32 s2, s6, s16
	s_lshl_b64 s[2:3], s[2:3], 1
	s_add_u32 s8, s26, s2
	s_addc_u32 s9, s27, s3
	s_mul_hi_i32 s3, s6, s17
	s_mul_i32 s2, s6, s17
	s_lshl_b64 s[2:3], s[2:3], 1
	s_add_u32 s16, s28, s2
	s_mul_hi_i32 s7, s56, s49
	s_mul_i32 s6, s56, s49
	s_addc_u32 s17, s29, s3
	s_add_i32 s57, s57, 0
	s_lshl_b64 s[6:7], s[6:7], 1
	s_mul_hi_i32 s3, s56, s50
	s_mul_i32 s2, s56, s50
	s_add_u32 s24, s8, s6
	s_addc_u32 s25, s9, s7
	s_lshl_b64 s[2:3], s[2:3], 1
	s_add_u32 s28, s16, s2
	v_mov_b32_e32 v2, 0x3fb8aa3b
	s_addc_u32 s29, s17, s3
	s_waitcnt lgkmcnt(0)
	v_mul_f32_e32 v42, s0, v2
	v_mov_b32_e32 v2, 0x3f317218
	s_sub_i32 s0, s22, s20
	v_mul_f32_e32 v2, s10, v2
	s_add_i32 s0, s0, 63
	v_mul_f32_e32 v55, s1, v2
	s_ashr_i32 s1, s0, 31
	s_lshr_b32 s1, s1, 26
	s_add_i32 s0, s0, s1
	v_readfirstlane_b32 s1, v0
	s_lshr_b32 s1, s1, 6
	v_lshrrev_b32_e32 v56, 6, v1
	v_add_lshl_u32 v3, s1, v56, 3
	v_lshrrev_b32_e32 v6, 5, v1
	v_lshlrev_b32_e32 v8, 3, v33
	s_movk_i32 s1, 0x208
	v_and_b32_e32 v7, 4, v47
	v_mad_u32_u24 v8, v6, s1, v8
	v_add_u32_e32 v9, 16, v47
	v_or_b32_e32 v8, v8, v7
	v_lshrrev_b32_e32 v9, 3, v9
	v_lshlrev_b32_e32 v7, 1, v7
	v_sub_u32_e32 v9, v9, v6
	v_lshlrev_b32_e32 v57, 1, v8
	s_movk_i32 s1, 0x410
	v_lshlrev_b32_e32 v10, 2, v1
	v_lshl_or_b32 v7, v33, 4, v7
	s_movk_i32 s46, 0x440
	v_and_b32_e32 v2, 3, v1
	v_mad_i32_i24 v58, v9, s1, v57
	v_lshlrev_b32_e32 v11, 1, v1
	v_bfe_u32 v12, v1, 4, 2
	v_mad_u32_u24 v61, v6, s46, v7
	v_lshlrev_b32_e32 v1, 4, v1
	v_and_b32_e32 v6, 12, v10
	s_movk_i32 s1, 0xc0
	v_lshlrev_b32_e32 v4, 1, v2
	v_and_or_b32 v1, v1, s1, v6
	s_movk_i32 s1, 0x110
	v_mad_u32_u24 v44, v12, s1, v1
	v_add3_u32 v1, s20, v3, v4
	v_mul_u32_u24_e32 v62, 0x410, v2
	v_lshlrev_b32_e32 v46, 4, v2
	v_add_u32_e32 v2, 32, v1
	v_add3_u32 v5, s20, v4, v3
	v_mul_lo_u32 v2, s13, v2
	v_and_b32_e32 v3, 0x78, v11
	v_lshl_add_u32 v63, v2, 1, v3
	v_add_u32_e32 v2, 33, v1
	v_mul_lo_u32 v1, s13, v1
	s_mul_i32 s26, s12, s57
	s_mul_i32 s27, s13, s57
	s_ashr_i32 s0, s0, 6
	v_add_u32_e32 v1, s13, v1
	s_add_i32 s26, s26, s51
	s_add_i32 s2, s27, s38
	s_mov_b32 s27, 0x20000
	v_or_b32_e32 v8, 3, v47
	v_mul_i32_i24_e32 v7, 0x440, v9
	s_max_i32 s0, s0, 1
	v_mul_lo_u32 v2, s13, v2
	v_lshl_add_u32 v65, v1, 1, v3
	v_mul_lo_u32 v1, s13, v5
	v_mov_b32_e32 v6, 0
	s_lshl_b32 s26, s26, 1
	s_lshl_b32 s30, s2, 1
	s_mov_b32 s31, s27
	s_add_i32 s16, s5, 64
	s_min_i32 s17, s11, s37
	v_add_u32_e32 v59, 0x80, v10
	v_add_u32_e32 v60, 64, v10
	s_lshl_b32 s47, s12, 1
	v_mov_b32_e32 v43, v42
	s_lshl_b32 s48, s13, 7
	v_lshl_add_u32 v64, v2, 1, v3
	v_lshl_add_u32 v66, v1, 1, v3
	s_add_i32 s49, s18, s20
	v_add_u32_e32 v67, s20, v8
	v_add_u32_e32 v68, s20, v45
	;; [unrolled: 1-line block ×3, first 2 shown]
	s_lshl_b32 s50, s0, 6
	v_mov_b32_e32 v48, v42
	v_mov_b32_e32 v49, v42
	;; [unrolled: 1-line block ×3, first 2 shown]
	s_mov_b32 s51, 0x1000504
	s_mov_b32 s52, 0x3020706
	;; [unrolled: 1-line block ×3, first 2 shown]
	v_add_u32_e32 v72, v61, v7
	s_mov_b32 s54, 0
	v_mov_b32_e32 v7, v6
	v_mov_b32_e32 v8, v6
	;; [unrolled: 1-line block ×15, first 2 shown]
.LBB1_14:                               ; =>This Inner Loop Header: Depth=1
	v_readfirstlane_b32 s0, v0
	s_lshr_b32 s2, s0, 2
	s_and_b32 s0, s2, 0x3ffffff0
	s_add_i32 s0, s0, s23
	v_add_u32_e32 v1, s0, v69
	v_mad_u64_u32 v[26:27], s[0:1], s47, v1, v[46:47]
	buffer_load_dwordx4 v[18:21], v26, s[24:27], 0 offen
	buffer_load_dwordx4 v[22:25], v26, s[24:27], 0 offen offset:64
	v_add_u32_e32 v1, s54, v66
	s_and_b32 s0, s2, 0xffffff0
	v_add_u32_e32 v26, s54, v65
	buffer_load_dwordx2 v[50:51], v1, s[28:31], 0 offen
	buffer_load_dwordx2 v[52:53], v26, s[28:31], 0 offen
	v_add_u32_e32 v1, s0, v47
	v_lshl_add_u32 v1, v1, 4, v62
	s_add_i32 s0, s20, s23
	s_add_i32 s0, s0, 64
	s_cmp_gt_i32 s0, s17
	s_cselect_b64 s[0:1], -1, 0
	s_add_i32 s2, s49, s23
	s_min_i32 s2, s2, s36
	s_cmp_gt_i32 s16, s2
	s_cselect_b64 s[2:3], -1, 0
	s_or_b64 s[12:13], s[0:1], s[2:3]
	v_add_u32_e32 v86, s23, v67
	s_waitcnt vmcnt(3)
	ds_write_b128 v1, v[18:21]
	s_waitcnt lgkmcnt(0)
	s_barrier
	ds_read2_b64 v[18:21], v57 offset1:32
	ds_read2_b64 v[82:85], v58 offset1:32
	ds_read2_b64 v[74:77], v57 offset0:64 offset1:96
	s_waitcnt lgkmcnt(2)
	v_mfma_f32_16x16x16_bf16 v[26:29], v[18:19], v[34:35], 0
	v_mfma_f32_16x16x16_bf16 v[18:21], v[20:21], v[34:35], 0
	s_waitcnt lgkmcnt(1)
	v_mfma_f32_16x16x16_bf16 v[26:29], v[82:83], v[36:37], v[26:29]
	v_mfma_f32_16x16x16_bf16 v[18:21], v[84:85], v[36:37], v[18:21]
	ds_read2_b64 v[82:85], v58 offset0:64 offset1:96
	s_waitcnt lgkmcnt(0)
	s_barrier
	v_mfma_f32_16x16x16_bf16 v[78:81], v[74:75], v[34:35], 0
	s_waitcnt vmcnt(2)
	ds_write_b128 v1, v[22:25]
	s_waitcnt lgkmcnt(0)
	s_barrier
	v_mfma_f32_16x16x16_bf16 v[74:77], v[76:77], v[34:35], 0
	v_mfma_f32_16x16x16_bf16 v[22:25], v[84:85], v[36:37], v[74:77]
	v_mfma_f32_16x16x16_bf16 v[78:81], v[82:83], v[36:37], v[78:81]
	s_nop 5
	ds_read2_b64 v[74:77], v57 offset1:32
	s_waitcnt lgkmcnt(0)
	v_mfma_f32_16x16x16_bf16 v[26:29], v[74:75], v[38:39], v[26:29]
	v_mfma_f32_16x16x16_bf16 v[18:21], v[76:77], v[38:39], v[18:21]
	ds_read2_b64 v[74:77], v57 offset0:64 offset1:96
	s_waitcnt lgkmcnt(0)
	v_mfma_f32_16x16x16_bf16 v[78:81], v[74:75], v[38:39], v[78:81]
	v_mfma_f32_16x16x16_bf16 v[22:25], v[76:77], v[38:39], v[22:25]
	ds_read2_b64 v[74:77], v58 offset1:32
	s_waitcnt lgkmcnt(0)
	v_mfma_f32_16x16x16_bf16 v[26:29], v[74:75], v[40:41], v[26:29]
	s_nop 7
	v_mul_f32_e32 v1, v55, v26
	v_mfma_f32_16x16x16_bf16 v[18:21], v[76:77], v[40:41], v[18:21]
	ds_read2_b64 v[74:77], v58 offset0:64 offset1:96
	v_mul_f32_e32 v26, v55, v27
	v_mul_f32_e32 v1, 0x4038aa3b, v1
	s_waitcnt lgkmcnt(0)
	v_mfma_f32_16x16x16_bf16 v[22:25], v[76:77], v[40:41], v[22:25]
	s_nop 2
	v_mul_f32_e32 v18, v55, v18
	v_mul_f32_e32 v19, v55, v19
	;; [unrolled: 1-line block ×3, first 2 shown]
	v_mfma_f32_16x16x16_bf16 v[78:81], v[74:75], v[40:41], v[78:81]
	v_mul_f32_e32 v21, v55, v21
	v_mul_f32_e32 v26, 0x4038aa3b, v26
	v_mul_f32_e32 v22, v55, v22
	v_mul_f32_e32 v23, v55, v23
	v_mul_f32_e32 v24, v55, v24
	v_mul_f32_e32 v25, v55, v25
	v_mul_f32_e32 v18, 0x4038aa3b, v18
	v_mul_f32_e32 v19, 0x4038aa3b, v19
	v_mul_f32_e32 v20, 0x4038aa3b, v20
	v_mul_f32_e32 v21, 0x4038aa3b, v21
	v_exp_f32_e32 v1, v1
	v_exp_f32_e32 v26, v26
	v_mul_f32_e32 v22, 0x4038aa3b, v22
	v_mul_f32_e32 v23, 0x4038aa3b, v23
	;; [unrolled: 1-line block ×4, first 2 shown]
	v_exp_f32_e32 v18, v18
	v_exp_f32_e32 v19, v19
	;; [unrolled: 1-line block ×8, first 2 shown]
	v_mul_f32_e32 v27, v55, v28
	v_mul_f32_e32 v28, v55, v29
	;; [unrolled: 1-line block ×12, first 2 shown]
	v_add_f32_e32 v1, 1.0, v1
	v_add_f32_e32 v26, 1.0, v26
	v_exp_f32_e32 v27, v27
	v_exp_f32_e32 v28, v28
	v_exp_f32_e32 v29, v29
	v_exp_f32_e32 v30, v30
	v_exp_f32_e32 v31, v31
	v_exp_f32_e32 v32, v32
	v_add_f32_e32 v73, 1.0, v18
	v_add_f32_e32 v74, 1.0, v19
	;; [unrolled: 1-line block ×4, first 2 shown]
	v_rcp_f32_e64 v19, -v26
	v_rcp_f32_e64 v18, -v1
	v_add_f32_e32 v77, 1.0, v22
	v_add_f32_e32 v80, 1.0, v23
	;; [unrolled: 1-line block ×4, first 2 shown]
	v_rcp_f32_e64 v23, -v74
	v_rcp_f32_e64 v22, -v73
	;; [unrolled: 1-line block ×4, first 2 shown]
	v_add_f32_e32 v27, 1.0, v27
	v_add_f32_e32 v28, 1.0, v28
	;; [unrolled: 1-line block ×6, first 2 shown]
	v_pk_fma_f32 v[18:19], v[18:19], 2.0, 1.0 op_sel_hi:[1,0,0]
	v_rcp_f32_e64 v21, -v28
	v_rcp_f32_e64 v20, -v27
	v_pk_mul_f32 v[26:27], v[42:43], v[18:19]
	v_pk_fma_f32 v[18:19], v[22:23], 2.0, 1.0 op_sel_hi:[1,0,0]
	v_pk_fma_f32 v[22:23], v[24:25], 2.0, 1.0 op_sel_hi:[1,0,0]
	v_rcp_f32_e64 v25, -v30
	v_rcp_f32_e64 v24, -v29
	;; [unrolled: 1-line block ×4, first 2 shown]
	v_pk_mul_f32 v[78:79], v[42:43], v[18:19]
	v_pk_fma_f32 v[18:19], v[24:25], 2.0, 1.0 op_sel_hi:[1,0,0]
	v_rcp_f32_e64 v31, -v82
	v_pk_fma_f32 v[24:25], v[28:29], 2.0, 1.0 op_sel_hi:[1,0,0]
	v_rcp_f32_e64 v29, -v80
	v_rcp_f32_e64 v28, -v77
	;; [unrolled: 1-line block ×3, first 2 shown]
	v_pk_fma_f32 v[20:21], v[20:21], 2.0, 1.0 op_sel_hi:[1,0,0]
	v_pk_mul_f32 v[80:81], v[42:43], v[18:19]
	v_pk_fma_f32 v[18:19], v[28:29], 2.0, 1.0 op_sel_hi:[1,0,0]
	v_add_u32_e32 v76, s23, v68
	v_pk_mul_f32 v[20:21], v[48:49], v[20:21]
	v_pk_mul_f32 v[82:83], v[42:43], v[18:19]
	v_mov_b32_e32 v18, s39
	v_cmp_gt_i32_e32 vcc, s22, v76
	v_add_u32_e32 v75, 16, v76
	v_pk_mul_f32 v[22:23], v[48:49], v[22:23]
	v_pk_fma_f32 v[28:29], v[30:31], 2.0, 1.0 op_sel_hi:[1,0,0]
	v_cndmask_b32_e32 v30, v18, v26, vcc
	v_cndmask_b32_e32 v1, v21, v21, vcc
	;; [unrolled: 1-line block ×4, first 2 shown]
	v_cmp_gt_i32_e32 vcc, s22, v75
	v_add_u32_e32 v74, 32, v76
	v_pk_mul_f32 v[24:25], v[48:49], v[24:25]
	v_cndmask_b32_e32 v18, v18, v78, vcc
	v_cndmask_b32_e32 v23, v23, v23, vcc
	v_cndmask_b32_e32 v26, v22, v22, vcc
	v_cndmask_b32_e32 v27, v79, v79, vcc
	v_mov_b32_e32 v20, s39
	v_cmp_gt_i32_e32 vcc, s22, v74
	v_add_u32_e32 v73, 48, v76
	v_pk_mul_f32 v[28:29], v[48:49], v[28:29]
	v_cndmask_b32_e32 v20, v20, v80, vcc
	v_cndmask_b32_e32 v89, v25, v25, vcc
	;; [unrolled: 1-line block ×4, first 2 shown]
	v_mov_b32_e32 v22, s39
	v_cmp_gt_i32_e32 vcc, s22, v73
	v_add_u32_e32 v88, 1, v76
	v_add_u32_e32 v87, 2, v76
	v_cndmask_b32_e32 v22, v22, v82, vcc
	v_cndmask_b32_e32 v91, v29, v29, vcc
	;; [unrolled: 1-line block ×4, first 2 shown]
	s_andn2_b64 vcc, exec, s[12:13]
	v_cmp_gt_i32_e64 s[12:13], s22, v88
	v_add_u32_e32 v85, 17, v76
	v_add_u32_e32 v84, 18, v76
	v_cndmask_b32_e64 v31, v70, v21, s[12:13]
	v_cmp_gt_i32_e64 s[12:13], s22, v87
	v_add_u32_e32 v83, 19, v76
	v_add_u32_e32 v82, 33, v76
	v_cndmask_b32_e64 v32, v70, v19, s[12:13]
	;; [unrolled: 4-line block ×4, first 2 shown]
	v_cmp_gt_i32_e64 s[12:13], s22, v84
	v_add_u32_e32 v77, 51, v76
	v_cmp_gt_i32_e64 s[0:1], s22, v81
	v_cndmask_b32_e64 v28, v70, v26, s[12:13]
	v_cmp_gt_i32_e64 s[12:13], s22, v83
	v_cmp_gt_i32_e64 s[2:3], s22, v80
	;; [unrolled: 1-line block ×5, first 2 shown]
	v_cndmask_b32_e64 v27, v70, v23, s[12:13]
	v_cmp_gt_i32_e64 s[12:13], s22, v82
	v_cndmask_b32_e64 v26, v70, v24, s[0:1]
	v_cndmask_b32_e64 v21, v70, v89, s[2:3]
	;; [unrolled: 1-line block ×6, first 2 shown]
	s_cbranch_vccnz .LBB1_16
; %bb.15:                               ;   in Loop: Header=BB1_14 Depth=1
	v_readfirstlane_b32 s0, v0
	s_lshr_b32 s0, s0, 2
	s_and_b32 s0, s0, 0x3ffffff0
	v_or_b32_e32 v89, s0, v33
	v_add_u32_e32 v89, s5, v89
	v_add_u32_e32 v91, s15, v89
	v_min_i32_e32 v91, s37, v91
	v_subrev_u32_e32 v90, s18, v89
	v_cmp_lt_i32_e64 s[0:1], v76, v91
	v_cmp_gt_i32_e64 s[2:3], s36, v89
	v_cmp_gt_i32_e32 vcc, v76, v90
	s_and_b64 s[0:1], s[0:1], s[2:3]
	v_mov_b32_e32 v76, s39
	s_and_b64 vcc, s[0:1], vcc
	v_cmp_lt_i32_e64 s[0:1], v88, v91
	v_cndmask_b32_e32 v30, v76, v30, vcc
	v_cmp_gt_i32_e32 vcc, v88, v90
	s_and_b64 s[0:1], s[0:1], s[2:3]
	s_and_b64 vcc, s[0:1], vcc
	v_cmp_lt_i32_e64 s[0:1], v87, v91
	v_cndmask_b32_e32 v31, v70, v31, vcc
	v_cmp_gt_i32_e32 vcc, v87, v90
	s_and_b64 s[0:1], s[0:1], s[2:3]
	;; [unrolled: 5-line block ×8, first 2 shown]
	v_mov_b32_e32 v74, s39
	s_and_b64 vcc, s[0:1], vcc
	v_cmp_lt_i32_e64 s[0:1], v82, v91
	v_cndmask_b32_e32 v20, v74, v20, vcc
	v_cmp_gt_i32_e32 vcc, v82, v90
	s_and_b64 s[0:1], s[0:1], s[2:3]
	s_and_b64 vcc, s[0:1], vcc
	v_cmp_lt_i32_e64 s[0:1], v81, v91
	v_cndmask_b32_e32 v23, v70, v23, vcc
	v_cmp_gt_i32_e32 vcc, v81, v90
	s_and_b64 s[0:1], s[0:1], s[2:3]
	;; [unrolled: 5-line block ×7, first 2 shown]
	s_and_b64 vcc, s[0:1], vcc
	v_cndmask_b32_e32 v19, v70, v19, vcc
.LBB1_16:                               ;   in Loop: Header=BB1_14 Depth=1
	v_max3_f32 v73, v30, s39, v31
	v_max3_f32 v73, v73, v32, v29
	;; [unrolled: 1-line block ×8, first 2 shown]
	ds_bpermute_b32 v74, v59, v73
	v_add_u32_e32 v79, s54, v63
	s_waitcnt lgkmcnt(0)
	s_barrier
	v_add_u32_e32 v80, s54, v64
	v_max_f32_e32 v74, v74, v74
	v_max_f32_e32 v73, v73, v74
	ds_bpermute_b32 v74, v60, v73
	v_readfirstlane_b32 s0, v0
	s_lshr_b32 s0, s0, 6
	s_add_i32 s54, s54, s48
	s_add_i32 s23, s23, 64
	s_waitcnt lgkmcnt(0)
	v_max3_f32 v73, v71, v73, v74
	v_cmp_neq_f32_e32 vcc, s39, v73
	s_cmp_lg_u32 s50, s23
	s_nop 0
	v_cndmask_b32_e32 v76, 0, v73, vcc
	v_sub_f32_e32 v77, v30, v76
	v_sub_f32_e32 v78, v31, v76
	buffer_load_dwordx2 v[30:31], v79, s[28:31], 0 offen
	buffer_load_dwordx2 v[74:75], v80, s[28:31], 0 offen
	v_sub_f32_e32 v18, v18, v76
	v_exp_f32_e32 v80, v18
	v_sub_f32_e32 v18, v25, v76
	v_exp_f32_e32 v81, v18
	;; [unrolled: 2-line block ×6, first 2 shown]
	v_sub_f32_e32 v18, v26, v76
	v_sub_f32_e32 v32, v32, v76
	v_exp_f32_e32 v77, v77
	v_exp_f32_e32 v78, v78
	;; [unrolled: 1-line block ×3, first 2 shown]
	v_sub_f32_e32 v18, v21, v76
	v_sub_f32_e32 v29, v29, v76
	v_exp_f32_e32 v79, v32
	v_exp_f32_e32 v87, v18
	v_sub_f32_e32 v18, v22, v76
	v_exp_f32_e32 v29, v29
	v_exp_f32_e32 v88, v18
	v_sub_f32_e32 v18, v24, v76
	v_exp_f32_e32 v89, v18
	v_sub_f32_e32 v18, v19, v76
	v_exp_f32_e32 v90, v18
	v_add_f32_e32 v18, v77, v78
	v_add_f32_e32 v18, v79, v18
	;; [unrolled: 1-line block ×5, first 2 shown]
	v_sub_f32_e32 v18, v71, v76
	v_add_u32_e32 v22, s0, v56
	v_exp_f32_e32 v32, v18
	s_waitcnt vmcnt(2)
	v_perm_b32 v18, v50, v52, s51
	v_perm_b32 v19, v50, v52, s52
	v_perm_b32 v20, v51, v53, s51
	v_perm_b32 v21, v51, v53, s52
	v_mad_u64_u32 v[50:51], s[0:1], v22, s46, v[44:45]
	ds_write2_b32 v50, v18, v19 offset1:4
	ds_write2_b32 v50, v20, v21 offset0:8 offset1:12
	s_waitcnt lgkmcnt(0)
	s_barrier
	ds_read2_b64 v[18:21], v61 offset1:34
	v_cvt_pk_bf16_f32 v22, v77, s0
	v_cvt_pk_bf16_f32 v23, v78, s0
	v_pk_mul_f32 v[8:9], v[8:9], v[32:33] op_sel_hi:[1,0]
	v_pk_mul_f32 v[6:7], v[6:7], v[32:33] op_sel_hi:[1,0]
	v_perm_b32 v52, v23, v22, s53
	v_cvt_pk_bf16_f32 v53, v79, v29
	v_pk_mul_f32 v[16:17], v[16:17], v[32:33] op_sel_hi:[1,0]
	v_pk_mul_f32 v[14:15], v[14:15], v[32:33] op_sel_hi:[1,0]
	s_waitcnt lgkmcnt(0)
	v_mfma_f32_16x16x16_bf16 v[6:9], v[18:19], v[52:53], v[6:9]
	v_cvt_pk_bf16_f32 v18, v80, s0
	v_cvt_pk_bf16_f32 v19, v81, s0
	v_sub_f32_e32 v1, v1, v76
	ds_read2_b64 v[22:25], v61 offset0:68 offset1:102
	v_mfma_f32_16x16x16_bf16 v[14:17], v[20:21], v[52:53], v[14:17]
	v_perm_b32 v76, v19, v18, s53
	ds_read2_b64 v[18:21], v72 offset1:34
	v_pk_mul_f32 v[12:13], v[12:13], v[32:33] op_sel_hi:[1,0]
	v_pk_mul_f32 v[10:11], v[10:11], v[32:33] op_sel_hi:[1,0]
	v_cvt_pk_bf16_f32 v77, v82, v83
	v_pk_mul_f32 v[4:5], v[4:5], v[32:33] op_sel_hi:[1,0]
	v_pk_mul_f32 v[2:3], v[2:3], v[32:33] op_sel_hi:[1,0]
	s_waitcnt lgkmcnt(1)
	v_mfma_f32_16x16x16_bf16 v[10:13], v[22:23], v[52:53], v[10:13]
	ds_read2_b64 v[26:29], v72 offset0:68 offset1:102
	s_waitcnt lgkmcnt(0)
	s_barrier
	v_mfma_f32_16x16x16_bf16 v[6:9], v[18:19], v[76:77], v[6:9]
	v_exp_f32_e32 v1, v1
	s_waitcnt vmcnt(0)
	v_perm_b32 v22, v30, v74, s51
	v_perm_b32 v23, v30, v74, s52
	;; [unrolled: 1-line block ×3, first 2 shown]
	v_mfma_f32_16x16x16_bf16 v[2:5], v[24:25], v[52:53], v[2:5]
	v_perm_b32 v24, v31, v75, s51
	ds_write2_b32 v50, v22, v23 offset1:4
	ds_write2_b32 v50, v24, v18 offset0:8 offset1:12
	s_waitcnt lgkmcnt(0)
	v_mfma_f32_16x16x16_bf16 v[14:17], v[20:21], v[76:77], v[14:17]
	s_barrier
	ds_read2_b64 v[18:21], v61 offset1:34
	v_cvt_pk_bf16_f32 v22, v84, s0
	v_cvt_pk_bf16_f32 v23, v85, s0
	v_mfma_f32_16x16x16_bf16 v[10:13], v[26:27], v[76:77], v[10:13]
	v_add_f32_e32 v30, v82, v91
	v_perm_b32 v26, v23, v22, s53
	v_cvt_pk_bf16_f32 v27, v86, v87
	ds_read2_b64 v[22:25], v61 offset0:68 offset1:102
	v_mfma_f32_16x16x16_bf16 v[2:5], v[28:29], v[76:77], v[2:5]
	s_waitcnt lgkmcnt(1)
	v_mfma_f32_16x16x16_bf16 v[6:9], v[18:19], v[26:27], v[6:9]
	v_add_f32_e32 v18, v83, v30
	v_add_f32_e32 v18, v84, v18
	;; [unrolled: 1-line block ×4, first 2 shown]
	v_mfma_f32_16x16x16_bf16 v[14:17], v[20:21], v[26:27], v[14:17]
	v_add_f32_e32 v28, v87, v18
	ds_read2_b64 v[18:21], v72 offset1:34
	s_waitcnt lgkmcnt(1)
	v_mfma_f32_16x16x16_bf16 v[10:13], v[22:23], v[26:27], v[10:13]
	v_add_f32_e32 v22, v88, v28
	v_add_f32_e32 v22, v1, v22
	v_cvt_pk_bf16_f32 v23, v88, s0
	v_cvt_pk_bf16_f32 v1, v1, s0
	v_mfma_f32_16x16x16_bf16 v[2:5], v[24:25], v[26:27], v[2:5]
	v_perm_b32 v26, v1, v23, s53
	v_add_f32_e32 v1, v89, v22
	v_cvt_pk_bf16_f32 v27, v89, v90
	v_add_f32_e32 v1, v90, v1
	ds_read2_b64 v[22:25], v72 offset0:68 offset1:102
	s_waitcnt lgkmcnt(1)
	v_mfma_f32_16x16x16_bf16 v[6:9], v[18:19], v[26:27], v[6:9]
	ds_bpermute_b32 v18, v59, v1
	s_waitcnt lgkmcnt(0)
	s_barrier
	v_mfma_f32_16x16x16_bf16 v[14:17], v[20:21], v[26:27], v[14:17]
	v_add_f32_e32 v1, v1, v18
	ds_bpermute_b32 v18, v60, v1
	v_mfma_f32_16x16x16_bf16 v[10:13], v[22:23], v[26:27], v[10:13]
	s_waitcnt lgkmcnt(0)
	v_add_f32_e32 v1, v1, v18
	v_mfma_f32_16x16x16_bf16 v[2:5], v[24:25], v[26:27], v[2:5]
	v_fmac_f32_e32 v1, v54, v32
	s_cbranch_scc0 .LBB1_18
; %bb.17:                               ;   in Loop: Header=BB1_14 Depth=1
	v_mov_b32_e32 v71, v73
	v_mov_b32_e32 v54, v1
	s_branch .LBB1_14
.LBB1_18:
	s_mov_b32 s0, 0x652b82fe
	v_cvt_f64_f32_e32 v[18:19], v73
	s_mov_b32 s1, 0x3ff71547
	s_setreg_imm32_b32 hwreg(HW_REG_MODE, 2, 2), 0
	v_div_scale_f64 v[20:21], s[2:3], s[0:1], s[0:1], v[18:19]
	v_rcp_f64_e32 v[22:23], v[20:21]
	s_lshl_b32 s46, s36, 2
	s_mov_b32 s47, 0x20000
	v_fma_f64 v[24:25], -v[20:21], v[22:23], 1.0
	v_fmac_f64_e32 v[22:23], v[22:23], v[24:25]
	v_fma_f64 v[24:25], -v[20:21], v[22:23], 1.0
	v_fmac_f64_e32 v[22:23], v[22:23], v[24:25]
	v_div_scale_f64 v[24:25], vcc, v[18:19], s[0:1], v[18:19]
	v_mul_f64 v[26:27], v[24:25], v[22:23]
	v_fma_f64 v[20:21], -v[20:21], v[26:27], v[24:25]
	v_log_f32_e32 v24, v1
	s_nop 0
	v_div_fmas_f64 v[20:21], v[20:21], v[22:23], v[26:27]
	v_div_fixup_f64 v[18:19], v[20:21], s[0:1], v[18:19]
	s_mov_b32 s0, 0x3f317217
	v_mul_f32_e32 v20, 0x3f317217, v24
	v_fma_f32 v20, v24, s0, -v20
	v_fmamk_f32 v20, v24, 0x3377d1cf, v20
	s_mov_b32 s0, 0x7f800000
	v_fmac_f32_e32 v20, 0x3f317217, v24
	v_cmp_lt_f32_e64 vcc, |v24|, s0
	v_readfirstlane_b32 s0, v0
	s_lshr_b32 s0, s0, 2
	v_cndmask_b32_e32 v20, v24, v20, vcc
	v_cvt_f64_f32_e32 v[20:21], v20
	v_add_f64 v[18:19], v[18:19], v[20:21]
	s_and_b32 s0, s0, 0x3ffffff0
	v_cvt_f32_f64_e32 v18, v[18:19]
	v_or_b32_e32 v19, s0, v33
	v_add_u32_e32 v19, s5, v19
	v_bfrev_b32_e32 v20, 1
	v_cmp_gt_i32_e32 vcc, s36, v19
	s_nop 1
	v_cndmask_b32_e64 v20, v20, 0, vcc
	v_lshl_add_u32 v19, v19, 2, v20
	buffer_store_dword v18, v19, s[44:47], 0 offen
	v_div_scale_f32 v18, s[0:1], v1, v1, 1.0
	v_rcp_f32_e32 v19, v18
	v_div_scale_f32 v20, vcc, 1.0, v1, 1.0
	s_setreg_imm32_b32 hwreg(HW_REG_MODE, 4, 2), 3
	v_fma_f32 v21, -v18, v19, 1.0
	v_fmac_f32_e32 v19, v21, v19
	v_mul_f32_e32 v21, v20, v19
	v_fma_f32 v22, -v18, v21, v20
	v_fmac_f32_e32 v21, v22, v19
	v_fma_f32 v18, -v18, v21, v20
	s_setreg_imm32_b32 hwreg(HW_REG_MODE, 4, 2), 0
	v_div_fmas_f32 v18, v18, v19, v21
	v_div_fixup_f32 v18, v18, v1, 1.0
	v_cmp_neq_f32_e32 vcc, 0, v1
	s_nop 1
	v_cndmask_b32_e32 v22, 0, v18, vcc
	v_pk_mul_f32 v[18:19], v[22:23], v[6:7] op_sel_hi:[0,1]
	v_pk_mul_f32 v[20:21], v[22:23], v[8:9] op_sel_hi:[0,1]
	;; [unrolled: 1-line block ×8, first 2 shown]
.LBB1_19:
	s_mul_i32 s0, s43, s14
	s_mul_hi_u32 s1, 0, s14
	s_add_i32 s0, s1, s0
	s_add_i32 s6, s0, s38
	s_mul_hi_i32 s1, s19, s34
	s_mul_i32 s0, s19, s34
	s_lshl_b64 s[0:1], s[0:1], 2
	s_add_u32 s2, s40, s0
	s_addc_u32 s3, s41, s1
	s_mul_hi_i32 s1, s35, s4
	s_mul_i32 s0, s35, s4
	s_lshl_b64 s[0:1], s[0:1], 2
	s_add_u32 s2, s2, s0
	s_mul_i32 s0, s42, s21
	s_addc_u32 s3, s3, s1
	s_ashr_i32 s1, s0, 31
	s_lshl_b64 s[0:1], s[0:1], 2
	s_add_u32 s0, s2, s0
	v_readfirstlane_b32 s2, v0
	s_addc_u32 s1, s3, s1
	s_lshr_b32 s2, s2, 2
	s_and_b32 s2, s2, 0x3ffffff0
	v_or_b32_e32 v0, s2, v33
	v_add_u32_e32 v10, s5, v0
	v_lshl_or_b32 v0, s33, 6, v45
	v_mad_u64_u32 v[0:1], s[2:3], v10, s14, v[0:1]
	v_bfrev_b32_e32 v1, 1
	v_cmp_gt_i32_e32 vcc, s36, v10
	s_lshl_b32 s2, s6, 2
	s_mov_b32 s3, 0x20000
	v_cndmask_b32_e64 v1, v1, 0, vcc
	v_lshl_add_u32 v0, v0, 2, v1
	buffer_store_dwordx4 v[18:21], v0, s[0:3], 0 offen
	buffer_store_dwordx4 v[14:17], v0, s[0:3], 0 offen offset:64
	buffer_store_dwordx4 v[6:9], v0, s[0:3], 0 offen offset:128
	;; [unrolled: 1-line block ×3, first 2 shown]
	s_endpgm
	.section	.rodata,"a",@progbits
	.p2align	6, 0x0
	.amdhsa_kernel _ZN7ck_tile6kentryINS_6gfx9_tELi3ENS_20FmhaFwdSplitKVKernelINS_33BlockFmhaFwdSplitKVPipelineQRKSVSINS_34BlockFmhaFwdSplitKVPipelineProblemIDF16bDF16bDF16bffDF16bfDF16bffNS_13TileFmhaShapeINS_8sequenceIJLi64ELi64ELi32ELi64ELi32ELi64EEEENS6_IJLi4ELi1ELi1EEEENS6_IJLi16ELi16ELi16EEEES8_S9_Lb1EEELb0ENS_17ComposedAttentionILj4ELb1EEENS_30SimplifiedGenericAttentionMaskILb1EEENS_24TileFmhaFwdSplitKVTraitsILb1ELb0ELb0ELb0ELb1ELNS_22BlockAttentionBiasEnumE0ELb0ELb1ELb0ELb0ELb1ELb0ELin1ELb0EEEEENS_46BlockFmhaFwdSplitKVPipelineQRKSVSDefaultPolicyEEENS_17Default2DEpilogueINS_24Default2DEpilogueProblemIffLb0ELb0ELb1EEEvEEEEJNSP_14BatchModeKargsEEEENSt9enable_ifIXnt26kattr_no_packed_fp32_ops_vIT_EEvE4typeEDpT2_
		.amdhsa_group_segment_fixed_size 4352
		.amdhsa_private_segment_fixed_size 0
		.amdhsa_kernarg_size 448
		.amdhsa_user_sgpr_count 2
		.amdhsa_user_sgpr_dispatch_ptr 0
		.amdhsa_user_sgpr_queue_ptr 0
		.amdhsa_user_sgpr_kernarg_segment_ptr 1
		.amdhsa_user_sgpr_dispatch_id 0
		.amdhsa_user_sgpr_kernarg_preload_length 0
		.amdhsa_user_sgpr_kernarg_preload_offset 0
		.amdhsa_user_sgpr_private_segment_size 0
		.amdhsa_uses_dynamic_stack 0
		.amdhsa_enable_private_segment 0
		.amdhsa_system_sgpr_workgroup_id_x 1
		.amdhsa_system_sgpr_workgroup_id_y 1
		.amdhsa_system_sgpr_workgroup_id_z 1
		.amdhsa_system_sgpr_workgroup_info 0
		.amdhsa_system_vgpr_workitem_id 0
		.amdhsa_next_free_vgpr 94
		.amdhsa_next_free_sgpr 66
		.amdhsa_accum_offset 96
		.amdhsa_reserve_vcc 1
		.amdhsa_float_round_mode_32 0
		.amdhsa_float_round_mode_16_64 0
		.amdhsa_float_denorm_mode_32 0
		.amdhsa_float_denorm_mode_16_64 3
		.amdhsa_dx10_clamp 1
		.amdhsa_ieee_mode 1
		.amdhsa_fp16_overflow 0
		.amdhsa_tg_split 0
		.amdhsa_exception_fp_ieee_invalid_op 0
		.amdhsa_exception_fp_denorm_src 0
		.amdhsa_exception_fp_ieee_div_zero 0
		.amdhsa_exception_fp_ieee_overflow 0
		.amdhsa_exception_fp_ieee_underflow 0
		.amdhsa_exception_fp_ieee_inexact 0
		.amdhsa_exception_int_div_zero 0
	.end_amdhsa_kernel
	.section	.text._ZN7ck_tile6kentryINS_6gfx9_tELi3ENS_20FmhaFwdSplitKVKernelINS_33BlockFmhaFwdSplitKVPipelineQRKSVSINS_34BlockFmhaFwdSplitKVPipelineProblemIDF16bDF16bDF16bffDF16bfDF16bffNS_13TileFmhaShapeINS_8sequenceIJLi64ELi64ELi32ELi64ELi32ELi64EEEENS6_IJLi4ELi1ELi1EEEENS6_IJLi16ELi16ELi16EEEES8_S9_Lb1EEELb0ENS_17ComposedAttentionILj4ELb1EEENS_30SimplifiedGenericAttentionMaskILb1EEENS_24TileFmhaFwdSplitKVTraitsILb1ELb0ELb0ELb0ELb1ELNS_22BlockAttentionBiasEnumE0ELb0ELb1ELb0ELb0ELb1ELb0ELin1ELb0EEEEENS_46BlockFmhaFwdSplitKVPipelineQRKSVSDefaultPolicyEEENS_17Default2DEpilogueINS_24Default2DEpilogueProblemIffLb0ELb0ELb1EEEvEEEEJNSP_14BatchModeKargsEEEENSt9enable_ifIXnt26kattr_no_packed_fp32_ops_vIT_EEvE4typeEDpT2_,"axG",@progbits,_ZN7ck_tile6kentryINS_6gfx9_tELi3ENS_20FmhaFwdSplitKVKernelINS_33BlockFmhaFwdSplitKVPipelineQRKSVSINS_34BlockFmhaFwdSplitKVPipelineProblemIDF16bDF16bDF16bffDF16bfDF16bffNS_13TileFmhaShapeINS_8sequenceIJLi64ELi64ELi32ELi64ELi32ELi64EEEENS6_IJLi4ELi1ELi1EEEENS6_IJLi16ELi16ELi16EEEES8_S9_Lb1EEELb0ENS_17ComposedAttentionILj4ELb1EEENS_30SimplifiedGenericAttentionMaskILb1EEENS_24TileFmhaFwdSplitKVTraitsILb1ELb0ELb0ELb0ELb1ELNS_22BlockAttentionBiasEnumE0ELb0ELb1ELb0ELb0ELb1ELb0ELin1ELb0EEEEENS_46BlockFmhaFwdSplitKVPipelineQRKSVSDefaultPolicyEEENS_17Default2DEpilogueINS_24Default2DEpilogueProblemIffLb0ELb0ELb1EEEvEEEEJNSP_14BatchModeKargsEEEENSt9enable_ifIXnt26kattr_no_packed_fp32_ops_vIT_EEvE4typeEDpT2_,comdat
.Lfunc_end1:
	.size	_ZN7ck_tile6kentryINS_6gfx9_tELi3ENS_20FmhaFwdSplitKVKernelINS_33BlockFmhaFwdSplitKVPipelineQRKSVSINS_34BlockFmhaFwdSplitKVPipelineProblemIDF16bDF16bDF16bffDF16bfDF16bffNS_13TileFmhaShapeINS_8sequenceIJLi64ELi64ELi32ELi64ELi32ELi64EEEENS6_IJLi4ELi1ELi1EEEENS6_IJLi16ELi16ELi16EEEES8_S9_Lb1EEELb0ENS_17ComposedAttentionILj4ELb1EEENS_30SimplifiedGenericAttentionMaskILb1EEENS_24TileFmhaFwdSplitKVTraitsILb1ELb0ELb0ELb0ELb1ELNS_22BlockAttentionBiasEnumE0ELb0ELb1ELb0ELb0ELb1ELb0ELin1ELb0EEEEENS_46BlockFmhaFwdSplitKVPipelineQRKSVSDefaultPolicyEEENS_17Default2DEpilogueINS_24Default2DEpilogueProblemIffLb0ELb0ELb1EEEvEEEEJNSP_14BatchModeKargsEEEENSt9enable_ifIXnt26kattr_no_packed_fp32_ops_vIT_EEvE4typeEDpT2_, .Lfunc_end1-_ZN7ck_tile6kentryINS_6gfx9_tELi3ENS_20FmhaFwdSplitKVKernelINS_33BlockFmhaFwdSplitKVPipelineQRKSVSINS_34BlockFmhaFwdSplitKVPipelineProblemIDF16bDF16bDF16bffDF16bfDF16bffNS_13TileFmhaShapeINS_8sequenceIJLi64ELi64ELi32ELi64ELi32ELi64EEEENS6_IJLi4ELi1ELi1EEEENS6_IJLi16ELi16ELi16EEEES8_S9_Lb1EEELb0ENS_17ComposedAttentionILj4ELb1EEENS_30SimplifiedGenericAttentionMaskILb1EEENS_24TileFmhaFwdSplitKVTraitsILb1ELb0ELb0ELb0ELb1ELNS_22BlockAttentionBiasEnumE0ELb0ELb1ELb0ELb0ELb1ELb0ELin1ELb0EEEEENS_46BlockFmhaFwdSplitKVPipelineQRKSVSDefaultPolicyEEENS_17Default2DEpilogueINS_24Default2DEpilogueProblemIffLb0ELb0ELb1EEEvEEEEJNSP_14BatchModeKargsEEEENSt9enable_ifIXnt26kattr_no_packed_fp32_ops_vIT_EEvE4typeEDpT2_
                                        ; -- End function
	.set _ZN7ck_tile6kentryINS_6gfx9_tELi3ENS_20FmhaFwdSplitKVKernelINS_33BlockFmhaFwdSplitKVPipelineQRKSVSINS_34BlockFmhaFwdSplitKVPipelineProblemIDF16bDF16bDF16bffDF16bfDF16bffNS_13TileFmhaShapeINS_8sequenceIJLi64ELi64ELi32ELi64ELi32ELi64EEEENS6_IJLi4ELi1ELi1EEEENS6_IJLi16ELi16ELi16EEEES8_S9_Lb1EEELb0ENS_17ComposedAttentionILj4ELb1EEENS_30SimplifiedGenericAttentionMaskILb1EEENS_24TileFmhaFwdSplitKVTraitsILb1ELb0ELb0ELb0ELb1ELNS_22BlockAttentionBiasEnumE0ELb0ELb1ELb0ELb0ELb1ELb0ELin1ELb0EEEEENS_46BlockFmhaFwdSplitKVPipelineQRKSVSDefaultPolicyEEENS_17Default2DEpilogueINS_24Default2DEpilogueProblemIffLb0ELb0ELb1EEEvEEEEJNSP_14BatchModeKargsEEEENSt9enable_ifIXnt26kattr_no_packed_fp32_ops_vIT_EEvE4typeEDpT2_.num_vgpr, 94
	.set _ZN7ck_tile6kentryINS_6gfx9_tELi3ENS_20FmhaFwdSplitKVKernelINS_33BlockFmhaFwdSplitKVPipelineQRKSVSINS_34BlockFmhaFwdSplitKVPipelineProblemIDF16bDF16bDF16bffDF16bfDF16bffNS_13TileFmhaShapeINS_8sequenceIJLi64ELi64ELi32ELi64ELi32ELi64EEEENS6_IJLi4ELi1ELi1EEEENS6_IJLi16ELi16ELi16EEEES8_S9_Lb1EEELb0ENS_17ComposedAttentionILj4ELb1EEENS_30SimplifiedGenericAttentionMaskILb1EEENS_24TileFmhaFwdSplitKVTraitsILb1ELb0ELb0ELb0ELb1ELNS_22BlockAttentionBiasEnumE0ELb0ELb1ELb0ELb0ELb1ELb0ELin1ELb0EEEEENS_46BlockFmhaFwdSplitKVPipelineQRKSVSDefaultPolicyEEENS_17Default2DEpilogueINS_24Default2DEpilogueProblemIffLb0ELb0ELb1EEEvEEEEJNSP_14BatchModeKargsEEEENSt9enable_ifIXnt26kattr_no_packed_fp32_ops_vIT_EEvE4typeEDpT2_.num_agpr, 0
	.set _ZN7ck_tile6kentryINS_6gfx9_tELi3ENS_20FmhaFwdSplitKVKernelINS_33BlockFmhaFwdSplitKVPipelineQRKSVSINS_34BlockFmhaFwdSplitKVPipelineProblemIDF16bDF16bDF16bffDF16bfDF16bffNS_13TileFmhaShapeINS_8sequenceIJLi64ELi64ELi32ELi64ELi32ELi64EEEENS6_IJLi4ELi1ELi1EEEENS6_IJLi16ELi16ELi16EEEES8_S9_Lb1EEELb0ENS_17ComposedAttentionILj4ELb1EEENS_30SimplifiedGenericAttentionMaskILb1EEENS_24TileFmhaFwdSplitKVTraitsILb1ELb0ELb0ELb0ELb1ELNS_22BlockAttentionBiasEnumE0ELb0ELb1ELb0ELb0ELb1ELb0ELin1ELb0EEEEENS_46BlockFmhaFwdSplitKVPipelineQRKSVSDefaultPolicyEEENS_17Default2DEpilogueINS_24Default2DEpilogueProblemIffLb0ELb0ELb1EEEvEEEEJNSP_14BatchModeKargsEEEENSt9enable_ifIXnt26kattr_no_packed_fp32_ops_vIT_EEvE4typeEDpT2_.numbered_sgpr, 66
	.set _ZN7ck_tile6kentryINS_6gfx9_tELi3ENS_20FmhaFwdSplitKVKernelINS_33BlockFmhaFwdSplitKVPipelineQRKSVSINS_34BlockFmhaFwdSplitKVPipelineProblemIDF16bDF16bDF16bffDF16bfDF16bffNS_13TileFmhaShapeINS_8sequenceIJLi64ELi64ELi32ELi64ELi32ELi64EEEENS6_IJLi4ELi1ELi1EEEENS6_IJLi16ELi16ELi16EEEES8_S9_Lb1EEELb0ENS_17ComposedAttentionILj4ELb1EEENS_30SimplifiedGenericAttentionMaskILb1EEENS_24TileFmhaFwdSplitKVTraitsILb1ELb0ELb0ELb0ELb1ELNS_22BlockAttentionBiasEnumE0ELb0ELb1ELb0ELb0ELb1ELb0ELin1ELb0EEEEENS_46BlockFmhaFwdSplitKVPipelineQRKSVSDefaultPolicyEEENS_17Default2DEpilogueINS_24Default2DEpilogueProblemIffLb0ELb0ELb1EEEvEEEEJNSP_14BatchModeKargsEEEENSt9enable_ifIXnt26kattr_no_packed_fp32_ops_vIT_EEvE4typeEDpT2_.num_named_barrier, 0
	.set _ZN7ck_tile6kentryINS_6gfx9_tELi3ENS_20FmhaFwdSplitKVKernelINS_33BlockFmhaFwdSplitKVPipelineQRKSVSINS_34BlockFmhaFwdSplitKVPipelineProblemIDF16bDF16bDF16bffDF16bfDF16bffNS_13TileFmhaShapeINS_8sequenceIJLi64ELi64ELi32ELi64ELi32ELi64EEEENS6_IJLi4ELi1ELi1EEEENS6_IJLi16ELi16ELi16EEEES8_S9_Lb1EEELb0ENS_17ComposedAttentionILj4ELb1EEENS_30SimplifiedGenericAttentionMaskILb1EEENS_24TileFmhaFwdSplitKVTraitsILb1ELb0ELb0ELb0ELb1ELNS_22BlockAttentionBiasEnumE0ELb0ELb1ELb0ELb0ELb1ELb0ELin1ELb0EEEEENS_46BlockFmhaFwdSplitKVPipelineQRKSVSDefaultPolicyEEENS_17Default2DEpilogueINS_24Default2DEpilogueProblemIffLb0ELb0ELb1EEEvEEEEJNSP_14BatchModeKargsEEEENSt9enable_ifIXnt26kattr_no_packed_fp32_ops_vIT_EEvE4typeEDpT2_.private_seg_size, 0
	.set _ZN7ck_tile6kentryINS_6gfx9_tELi3ENS_20FmhaFwdSplitKVKernelINS_33BlockFmhaFwdSplitKVPipelineQRKSVSINS_34BlockFmhaFwdSplitKVPipelineProblemIDF16bDF16bDF16bffDF16bfDF16bffNS_13TileFmhaShapeINS_8sequenceIJLi64ELi64ELi32ELi64ELi32ELi64EEEENS6_IJLi4ELi1ELi1EEEENS6_IJLi16ELi16ELi16EEEES8_S9_Lb1EEELb0ENS_17ComposedAttentionILj4ELb1EEENS_30SimplifiedGenericAttentionMaskILb1EEENS_24TileFmhaFwdSplitKVTraitsILb1ELb0ELb0ELb0ELb1ELNS_22BlockAttentionBiasEnumE0ELb0ELb1ELb0ELb0ELb1ELb0ELin1ELb0EEEEENS_46BlockFmhaFwdSplitKVPipelineQRKSVSDefaultPolicyEEENS_17Default2DEpilogueINS_24Default2DEpilogueProblemIffLb0ELb0ELb1EEEvEEEEJNSP_14BatchModeKargsEEEENSt9enable_ifIXnt26kattr_no_packed_fp32_ops_vIT_EEvE4typeEDpT2_.uses_vcc, 1
	.set _ZN7ck_tile6kentryINS_6gfx9_tELi3ENS_20FmhaFwdSplitKVKernelINS_33BlockFmhaFwdSplitKVPipelineQRKSVSINS_34BlockFmhaFwdSplitKVPipelineProblemIDF16bDF16bDF16bffDF16bfDF16bffNS_13TileFmhaShapeINS_8sequenceIJLi64ELi64ELi32ELi64ELi32ELi64EEEENS6_IJLi4ELi1ELi1EEEENS6_IJLi16ELi16ELi16EEEES8_S9_Lb1EEELb0ENS_17ComposedAttentionILj4ELb1EEENS_30SimplifiedGenericAttentionMaskILb1EEENS_24TileFmhaFwdSplitKVTraitsILb1ELb0ELb0ELb0ELb1ELNS_22BlockAttentionBiasEnumE0ELb0ELb1ELb0ELb0ELb1ELb0ELin1ELb0EEEEENS_46BlockFmhaFwdSplitKVPipelineQRKSVSDefaultPolicyEEENS_17Default2DEpilogueINS_24Default2DEpilogueProblemIffLb0ELb0ELb1EEEvEEEEJNSP_14BatchModeKargsEEEENSt9enable_ifIXnt26kattr_no_packed_fp32_ops_vIT_EEvE4typeEDpT2_.uses_flat_scratch, 0
	.set _ZN7ck_tile6kentryINS_6gfx9_tELi3ENS_20FmhaFwdSplitKVKernelINS_33BlockFmhaFwdSplitKVPipelineQRKSVSINS_34BlockFmhaFwdSplitKVPipelineProblemIDF16bDF16bDF16bffDF16bfDF16bffNS_13TileFmhaShapeINS_8sequenceIJLi64ELi64ELi32ELi64ELi32ELi64EEEENS6_IJLi4ELi1ELi1EEEENS6_IJLi16ELi16ELi16EEEES8_S9_Lb1EEELb0ENS_17ComposedAttentionILj4ELb1EEENS_30SimplifiedGenericAttentionMaskILb1EEENS_24TileFmhaFwdSplitKVTraitsILb1ELb0ELb0ELb0ELb1ELNS_22BlockAttentionBiasEnumE0ELb0ELb1ELb0ELb0ELb1ELb0ELin1ELb0EEEEENS_46BlockFmhaFwdSplitKVPipelineQRKSVSDefaultPolicyEEENS_17Default2DEpilogueINS_24Default2DEpilogueProblemIffLb0ELb0ELb1EEEvEEEEJNSP_14BatchModeKargsEEEENSt9enable_ifIXnt26kattr_no_packed_fp32_ops_vIT_EEvE4typeEDpT2_.has_dyn_sized_stack, 0
	.set _ZN7ck_tile6kentryINS_6gfx9_tELi3ENS_20FmhaFwdSplitKVKernelINS_33BlockFmhaFwdSplitKVPipelineQRKSVSINS_34BlockFmhaFwdSplitKVPipelineProblemIDF16bDF16bDF16bffDF16bfDF16bffNS_13TileFmhaShapeINS_8sequenceIJLi64ELi64ELi32ELi64ELi32ELi64EEEENS6_IJLi4ELi1ELi1EEEENS6_IJLi16ELi16ELi16EEEES8_S9_Lb1EEELb0ENS_17ComposedAttentionILj4ELb1EEENS_30SimplifiedGenericAttentionMaskILb1EEENS_24TileFmhaFwdSplitKVTraitsILb1ELb0ELb0ELb0ELb1ELNS_22BlockAttentionBiasEnumE0ELb0ELb1ELb0ELb0ELb1ELb0ELin1ELb0EEEEENS_46BlockFmhaFwdSplitKVPipelineQRKSVSDefaultPolicyEEENS_17Default2DEpilogueINS_24Default2DEpilogueProblemIffLb0ELb0ELb1EEEvEEEEJNSP_14BatchModeKargsEEEENSt9enable_ifIXnt26kattr_no_packed_fp32_ops_vIT_EEvE4typeEDpT2_.has_recursion, 0
	.set _ZN7ck_tile6kentryINS_6gfx9_tELi3ENS_20FmhaFwdSplitKVKernelINS_33BlockFmhaFwdSplitKVPipelineQRKSVSINS_34BlockFmhaFwdSplitKVPipelineProblemIDF16bDF16bDF16bffDF16bfDF16bffNS_13TileFmhaShapeINS_8sequenceIJLi64ELi64ELi32ELi64ELi32ELi64EEEENS6_IJLi4ELi1ELi1EEEENS6_IJLi16ELi16ELi16EEEES8_S9_Lb1EEELb0ENS_17ComposedAttentionILj4ELb1EEENS_30SimplifiedGenericAttentionMaskILb1EEENS_24TileFmhaFwdSplitKVTraitsILb1ELb0ELb0ELb0ELb1ELNS_22BlockAttentionBiasEnumE0ELb0ELb1ELb0ELb0ELb1ELb0ELin1ELb0EEEEENS_46BlockFmhaFwdSplitKVPipelineQRKSVSDefaultPolicyEEENS_17Default2DEpilogueINS_24Default2DEpilogueProblemIffLb0ELb0ELb1EEEvEEEEJNSP_14BatchModeKargsEEEENSt9enable_ifIXnt26kattr_no_packed_fp32_ops_vIT_EEvE4typeEDpT2_.has_indirect_call, 0
	.section	.AMDGPU.csdata,"",@progbits
; Kernel info:
; codeLenInByte = 5600
; TotalNumSgprs: 72
; NumVgprs: 94
; NumAgprs: 0
; TotalNumVgprs: 94
; ScratchSize: 0
; MemoryBound: 0
; FloatMode: 192
; IeeeMode: 1
; LDSByteSize: 4352 bytes/workgroup (compile time only)
; SGPRBlocks: 8
; VGPRBlocks: 11
; NumSGPRsForWavesPerEU: 72
; NumVGPRsForWavesPerEU: 94
; AccumOffset: 96
; Occupancy: 5
; WaveLimiterHint : 1
; COMPUTE_PGM_RSRC2:SCRATCH_EN: 0
; COMPUTE_PGM_RSRC2:USER_SGPR: 2
; COMPUTE_PGM_RSRC2:TRAP_HANDLER: 0
; COMPUTE_PGM_RSRC2:TGID_X_EN: 1
; COMPUTE_PGM_RSRC2:TGID_Y_EN: 1
; COMPUTE_PGM_RSRC2:TGID_Z_EN: 1
; COMPUTE_PGM_RSRC2:TIDIG_COMP_CNT: 0
; COMPUTE_PGM_RSRC3_GFX90A:ACCUM_OFFSET: 23
; COMPUTE_PGM_RSRC3_GFX90A:TG_SPLIT: 0
	.section	.text._ZN7ck_tile6kentryINS_6gfx9_tELi3ENS_20FmhaFwdSplitKVKernelINS_33BlockFmhaFwdSplitKVPipelineQRKSVSINS_34BlockFmhaFwdSplitKVPipelineProblemIDF16bDF16bDF16bffDF16bfDF16bffNS_13TileFmhaShapeINS_8sequenceIJLi64ELi64ELi32ELi64ELi32ELi64EEEENS6_IJLi4ELi1ELi1EEEENS6_IJLi16ELi16ELi16EEEES8_S9_Lb1EEELb0ENS_17ComposedAttentionILj4ELb1EEENS_30SimplifiedGenericAttentionMaskILb1EEENS_24TileFmhaFwdSplitKVTraitsILb1ELb0ELb0ELb0ELb1ELNS_22BlockAttentionBiasEnumE0ELb0ELb1ELb0ELb0ELb0ELb0ELin1ELb0EEEEENS_46BlockFmhaFwdSplitKVPipelineQRKSVSDefaultPolicyEEENS_17Default2DEpilogueINS_24Default2DEpilogueProblemIffLb0ELb0ELb1EEEvEEEEJNSP_14BatchModeKargsEEEENSt9enable_ifIXnt26kattr_no_packed_fp32_ops_vIT_EEvE4typeEDpT2_,"axG",@progbits,_ZN7ck_tile6kentryINS_6gfx9_tELi3ENS_20FmhaFwdSplitKVKernelINS_33BlockFmhaFwdSplitKVPipelineQRKSVSINS_34BlockFmhaFwdSplitKVPipelineProblemIDF16bDF16bDF16bffDF16bfDF16bffNS_13TileFmhaShapeINS_8sequenceIJLi64ELi64ELi32ELi64ELi32ELi64EEEENS6_IJLi4ELi1ELi1EEEENS6_IJLi16ELi16ELi16EEEES8_S9_Lb1EEELb0ENS_17ComposedAttentionILj4ELb1EEENS_30SimplifiedGenericAttentionMaskILb1EEENS_24TileFmhaFwdSplitKVTraitsILb1ELb0ELb0ELb0ELb1ELNS_22BlockAttentionBiasEnumE0ELb0ELb1ELb0ELb0ELb0ELb0ELin1ELb0EEEEENS_46BlockFmhaFwdSplitKVPipelineQRKSVSDefaultPolicyEEENS_17Default2DEpilogueINS_24Default2DEpilogueProblemIffLb0ELb0ELb1EEEvEEEEJNSP_14BatchModeKargsEEEENSt9enable_ifIXnt26kattr_no_packed_fp32_ops_vIT_EEvE4typeEDpT2_,comdat
	.protected	_ZN7ck_tile6kentryINS_6gfx9_tELi3ENS_20FmhaFwdSplitKVKernelINS_33BlockFmhaFwdSplitKVPipelineQRKSVSINS_34BlockFmhaFwdSplitKVPipelineProblemIDF16bDF16bDF16bffDF16bfDF16bffNS_13TileFmhaShapeINS_8sequenceIJLi64ELi64ELi32ELi64ELi32ELi64EEEENS6_IJLi4ELi1ELi1EEEENS6_IJLi16ELi16ELi16EEEES8_S9_Lb1EEELb0ENS_17ComposedAttentionILj4ELb1EEENS_30SimplifiedGenericAttentionMaskILb1EEENS_24TileFmhaFwdSplitKVTraitsILb1ELb0ELb0ELb0ELb1ELNS_22BlockAttentionBiasEnumE0ELb0ELb1ELb0ELb0ELb0ELb0ELin1ELb0EEEEENS_46BlockFmhaFwdSplitKVPipelineQRKSVSDefaultPolicyEEENS_17Default2DEpilogueINS_24Default2DEpilogueProblemIffLb0ELb0ELb1EEEvEEEEJNSP_14BatchModeKargsEEEENSt9enable_ifIXnt26kattr_no_packed_fp32_ops_vIT_EEvE4typeEDpT2_ ; -- Begin function _ZN7ck_tile6kentryINS_6gfx9_tELi3ENS_20FmhaFwdSplitKVKernelINS_33BlockFmhaFwdSplitKVPipelineQRKSVSINS_34BlockFmhaFwdSplitKVPipelineProblemIDF16bDF16bDF16bffDF16bfDF16bffNS_13TileFmhaShapeINS_8sequenceIJLi64ELi64ELi32ELi64ELi32ELi64EEEENS6_IJLi4ELi1ELi1EEEENS6_IJLi16ELi16ELi16EEEES8_S9_Lb1EEELb0ENS_17ComposedAttentionILj4ELb1EEENS_30SimplifiedGenericAttentionMaskILb1EEENS_24TileFmhaFwdSplitKVTraitsILb1ELb0ELb0ELb0ELb1ELNS_22BlockAttentionBiasEnumE0ELb0ELb1ELb0ELb0ELb0ELb0ELin1ELb0EEEEENS_46BlockFmhaFwdSplitKVPipelineQRKSVSDefaultPolicyEEENS_17Default2DEpilogueINS_24Default2DEpilogueProblemIffLb0ELb0ELb1EEEvEEEEJNSP_14BatchModeKargsEEEENSt9enable_ifIXnt26kattr_no_packed_fp32_ops_vIT_EEvE4typeEDpT2_
	.globl	_ZN7ck_tile6kentryINS_6gfx9_tELi3ENS_20FmhaFwdSplitKVKernelINS_33BlockFmhaFwdSplitKVPipelineQRKSVSINS_34BlockFmhaFwdSplitKVPipelineProblemIDF16bDF16bDF16bffDF16bfDF16bffNS_13TileFmhaShapeINS_8sequenceIJLi64ELi64ELi32ELi64ELi32ELi64EEEENS6_IJLi4ELi1ELi1EEEENS6_IJLi16ELi16ELi16EEEES8_S9_Lb1EEELb0ENS_17ComposedAttentionILj4ELb1EEENS_30SimplifiedGenericAttentionMaskILb1EEENS_24TileFmhaFwdSplitKVTraitsILb1ELb0ELb0ELb0ELb1ELNS_22BlockAttentionBiasEnumE0ELb0ELb1ELb0ELb0ELb0ELb0ELin1ELb0EEEEENS_46BlockFmhaFwdSplitKVPipelineQRKSVSDefaultPolicyEEENS_17Default2DEpilogueINS_24Default2DEpilogueProblemIffLb0ELb0ELb1EEEvEEEEJNSP_14BatchModeKargsEEEENSt9enable_ifIXnt26kattr_no_packed_fp32_ops_vIT_EEvE4typeEDpT2_
	.p2align	8
	.type	_ZN7ck_tile6kentryINS_6gfx9_tELi3ENS_20FmhaFwdSplitKVKernelINS_33BlockFmhaFwdSplitKVPipelineQRKSVSINS_34BlockFmhaFwdSplitKVPipelineProblemIDF16bDF16bDF16bffDF16bfDF16bffNS_13TileFmhaShapeINS_8sequenceIJLi64ELi64ELi32ELi64ELi32ELi64EEEENS6_IJLi4ELi1ELi1EEEENS6_IJLi16ELi16ELi16EEEES8_S9_Lb1EEELb0ENS_17ComposedAttentionILj4ELb1EEENS_30SimplifiedGenericAttentionMaskILb1EEENS_24TileFmhaFwdSplitKVTraitsILb1ELb0ELb0ELb0ELb1ELNS_22BlockAttentionBiasEnumE0ELb0ELb1ELb0ELb0ELb0ELb0ELin1ELb0EEEEENS_46BlockFmhaFwdSplitKVPipelineQRKSVSDefaultPolicyEEENS_17Default2DEpilogueINS_24Default2DEpilogueProblemIffLb0ELb0ELb1EEEvEEEEJNSP_14BatchModeKargsEEEENSt9enable_ifIXnt26kattr_no_packed_fp32_ops_vIT_EEvE4typeEDpT2_,@function
_ZN7ck_tile6kentryINS_6gfx9_tELi3ENS_20FmhaFwdSplitKVKernelINS_33BlockFmhaFwdSplitKVPipelineQRKSVSINS_34BlockFmhaFwdSplitKVPipelineProblemIDF16bDF16bDF16bffDF16bfDF16bffNS_13TileFmhaShapeINS_8sequenceIJLi64ELi64ELi32ELi64ELi32ELi64EEEENS6_IJLi4ELi1ELi1EEEENS6_IJLi16ELi16ELi16EEEES8_S9_Lb1EEELb0ENS_17ComposedAttentionILj4ELb1EEENS_30SimplifiedGenericAttentionMaskILb1EEENS_24TileFmhaFwdSplitKVTraitsILb1ELb0ELb0ELb0ELb1ELNS_22BlockAttentionBiasEnumE0ELb0ELb1ELb0ELb0ELb0ELb0ELin1ELb0EEEEENS_46BlockFmhaFwdSplitKVPipelineQRKSVSDefaultPolicyEEENS_17Default2DEpilogueINS_24Default2DEpilogueProblemIffLb0ELb0ELb1EEEvEEEEJNSP_14BatchModeKargsEEEENSt9enable_ifIXnt26kattr_no_packed_fp32_ops_vIT_EEvE4typeEDpT2_: ; @_ZN7ck_tile6kentryINS_6gfx9_tELi3ENS_20FmhaFwdSplitKVKernelINS_33BlockFmhaFwdSplitKVPipelineQRKSVSINS_34BlockFmhaFwdSplitKVPipelineProblemIDF16bDF16bDF16bffDF16bfDF16bffNS_13TileFmhaShapeINS_8sequenceIJLi64ELi64ELi32ELi64ELi32ELi64EEEENS6_IJLi4ELi1ELi1EEEENS6_IJLi16ELi16ELi16EEEES8_S9_Lb1EEELb0ENS_17ComposedAttentionILj4ELb1EEENS_30SimplifiedGenericAttentionMaskILb1EEENS_24TileFmhaFwdSplitKVTraitsILb1ELb0ELb0ELb0ELb1ELNS_22BlockAttentionBiasEnumE0ELb0ELb1ELb0ELb0ELb0ELb0ELin1ELb0EEEEENS_46BlockFmhaFwdSplitKVPipelineQRKSVSDefaultPolicyEEENS_17Default2DEpilogueINS_24Default2DEpilogueProblemIffLb0ELb0ELb1EEEvEEEEJNSP_14BatchModeKargsEEEENSt9enable_ifIXnt26kattr_no_packed_fp32_ops_vIT_EEvE4typeEDpT2_
; %bb.0:
	s_load_dwordx4 s[36:39], s[0:1], 0x34
	s_load_dwordx16 s[8:23], s[0:1], 0x48
	s_load_dwordx4 s[40:43], s[0:1], 0x20
	s_mov_b32 s6, s3
	s_abs_i32 s24, s2
	s_waitcnt lgkmcnt(0)
	s_add_i32 s5, s39, 63
	s_abs_i32 s3, s9
	v_cvt_f32_u32_e32 v1, s3
	s_sub_i32 s25, 0, s3
	s_ashr_i32 s7, s5, 31
	s_lshr_b32 s7, s7, 26
	v_rcp_iflag_f32_e32 v1, v1
	s_add_i32 s5, s5, s7
	s_ashr_i32 s7, s2, 31
	s_ashr_i32 s46, s9, 31
	v_mul_f32_e32 v1, 0x4f7ffffe, v1
	v_cvt_u32_f32_e32 v1, v1
	s_ashr_i32 s5, s5, 6
	s_xor_b32 s7, s7, s46
	v_readfirstlane_b32 s47, v1
	s_mul_i32 s25, s25, s47
	s_mul_hi_u32 s25, s47, s25
	s_add_i32 s47, s47, s25
	s_mul_hi_u32 s25, s24, s47
	s_mul_i32 s26, s25, s3
	s_sub_i32 s24, s24, s26
	s_add_i32 s26, s25, 1
	s_sub_i32 s27, s24, s3
	s_cmp_ge_u32 s24, s3
	s_cselect_b32 s25, s26, s25
	s_cselect_b32 s24, s27, s24
	s_add_i32 s26, s25, 1
	s_cmp_ge_u32 s24, s3
	s_cselect_b32 s33, s26, s25
	s_abs_i32 s44, s5
	v_cvt_f32_u32_e32 v1, s44
	s_sub_i32 s45, 0, s44
	s_xor_b32 s33, s33, s7
	s_sub_i32 s57, s33, s7
	v_rcp_iflag_f32_e32 v1, v1
	s_abs_i32 s33, s57
	s_xor_b32 s7, s57, s5
	s_ashr_i32 s7, s7, 31
	v_mul_f32_e32 v1, 0x4f7ffffe, v1
	v_cvt_u32_f32_e32 v1, v1
	s_load_dwordx8 s[24:31], s[0:1], 0x0
	s_load_dwordx2 s[34:35], s[0:1], 0x90
	s_load_dwordx4 s[48:51], s[0:1], 0xa8
	v_readfirstlane_b32 s52, v1
	s_mul_i32 s45, s45, s52
	s_mul_hi_u32 s45, s52, s45
	s_add_i32 s52, s52, s45
	s_mul_hi_u32 s45, s33, s52
	s_mul_i32 s52, s45, s44
	s_sub_i32 s33, s33, s52
	s_add_i32 s52, s45, 1
	s_sub_i32 s53, s33, s44
	s_cmp_ge_u32 s33, s44
	v_cvt_f32_u32_e32 v1, s9
	s_cselect_b32 s45, s52, s45
	s_cselect_b32 s33, s53, s33
	s_add_i32 s52, s45, 1
	s_cmp_ge_u32 s33, s44
	s_cselect_b32 s33, s52, s45
	s_load_dword s52, s[0:1], 0xc0
	s_load_dword s44, s[0:1], 0xd0
	v_rcp_iflag_f32_e32 v1, v1
	s_xor_b32 s33, s33, s7
	s_sub_i32 s7, s33, s7
	s_mul_i32 s5, s7, s5
	v_mul_f32_e32 v1, 0x4f7ffffe, v1
	s_sub_i32 s33, s57, s5
	s_waitcnt lgkmcnt(0)
	s_lshr_b32 s5, s44, 16
	v_cvt_u32_f32_e32 v1, v1
	s_cmp_lg_u32 s5, 0
	s_cselect_b64 s[44:45], -1, 0
	s_cmp_lg_u64 s[44:45], 0
	s_addc_u32 s5, s52, 0
	s_sub_i32 s44, 0, s9
	v_readfirstlane_b32 s45, v1
	s_mul_i32 s44, s44, s45
	s_mul_hi_u32 s44, s45, s44
	s_add_i32 s45, s45, s44
	s_mul_hi_u32 s44, s5, s45
	s_mul_i32 s45, s44, s9
	s_sub_i32 s5, s5, s45
	s_add_i32 s45, s44, 1
	s_sub_i32 s52, s5, s9
	s_cmp_ge_u32 s5, s9
	s_cselect_b32 s44, s45, s44
	s_cselect_b32 s5, s52, s5
	s_add_i32 s45, s44, 1
	s_cmp_ge_u32 s5, s9
	s_cselect_b32 s44, s45, s44
	s_not_b32 s5, s7
	s_add_i32 s44, s44, s5
	s_cmp_eq_u64 s[42:43], 0
	s_cbranch_scc1 .LBB2_2
; %bb.1:
	s_ashr_i32 s7, s6, 31
	s_lshl_b64 s[52:53], s[6:7], 2
	s_add_u32 s42, s42, s52
	s_addc_u32 s43, s43, s53
	s_load_dword s5, s[42:43], 0x0
	v_mov_b32_e32 v1, s10
	s_waitcnt lgkmcnt(0)
	v_mov_b32_e32 v2, s5
	v_div_scale_f32 v3, s[42:43], s10, s10, v2
	v_rcp_f32_e32 v4, v3
	v_div_scale_f32 v1, vcc, s5, v1, s5
	s_setreg_imm32_b32 hwreg(HW_REG_MODE, 4, 2), 3
	v_fma_f32 v5, -v3, v4, 1.0
	v_fmac_f32_e32 v4, v5, v4
	v_mul_f32_e32 v5, v1, v4
	v_fma_f32 v6, -v3, v5, v1
	v_fmac_f32_e32 v5, v6, v4
	v_fma_f32 v1, -v3, v5, v1
	s_setreg_imm32_b32 hwreg(HW_REG_MODE, 4, 2), 0
	v_div_fmas_f32 v1, v1, v4, v5
	v_div_fixup_f32 v11, v1, s10, v2
	s_branch .LBB2_3
.LBB2_2:
	v_mov_b32_e32 v11, 0xff800000
.LBB2_3:
	s_load_dwordx2 s[42:43], s[0:1], 0xa0
	s_load_dword s7, s[0:1], 0xb8
	s_ashr_i32 s5, s4, 31
	s_cmp_eq_u64 s[34:35], 0
	s_cbranch_scc1 .LBB2_11
; %bb.4:
	s_lshl_b64 s[52:53], s[4:5], 2
	s_add_u32 s34, s34, s52
	s_addc_u32 s35, s35, s53
	s_load_dword s56, s[34:35], 0x0
	s_nop 0
	s_load_dword s34, s[0:1], 0x8c
	s_waitcnt lgkmcnt(0)
	s_cmp_eq_u64 s[42:43], 0
	s_cbranch_scc1 .LBB2_6
.LBB2_5:
	s_lshl_b64 s[52:53], s[4:5], 2
	s_add_u32 s42, s42, s52
	s_addc_u32 s43, s43, s53
	s_load_dword s37, s[42:43], 0x0
.LBB2_6:
	s_waitcnt lgkmcnt(0)
	s_sub_i32 s35, s36, s37
	s_sub_i32 s5, s37, s36
	s_add_i32 s35, s35, 1
	s_cmp_eq_u32 s34, 1
	s_cselect_b32 s62, 1, s35
	s_add_i32 s5, s5, 1
	s_cmp_eq_u32 s34, 1
	s_cselect_b32 s63, 1, s5
	s_add_i32 s35, s36, -1
	s_add_i32 s42, s37, -1
	s_cmp_eq_u32 s34, 1
	s_cselect_b32 s64, s35, s42
	s_cselect_b32 s65, s42, s35
	s_add_i32 s38, s38, -1
	s_mul_i32 s57, s57, s9
	s_lshl_b32 s5, s44, 6
	s_add_u32 s43, s38, 1
	s_add_i32 s38, s39, -1
	s_mul_i32 s39, s35, s11
	s_mul_hi_i32 s45, s15, s6
	s_mul_i32 s44, s15, s6
	s_mul_hi_i32 s55, s51, s4
	s_mul_i32 s54, s51, s4
	s_sub_i32 s34, s2, s57
	s_abs_i32 s51, s8
	s_add_u32 s38, s38, 1
	s_add_i32 s39, s39, s43
	s_lshl_b64 s[44:45], s[44:45], 1
	s_mul_hi_i32 s53, s48, s4
	s_mul_i32 s52, s48, s4
	s_add_u32 s15, s24, s44
	s_mul_hi_i32 s59, s18, s6
	s_mul_i32 s58, s18, s6
	s_addc_u32 s18, s25, s45
	s_lshl_b64 s[24:25], s[52:53], 1
	s_add_u32 s52, s15, s24
	s_addc_u32 s53, s18, s25
	s_lshl_b64 s[24:25], s[58:59], 2
	s_add_u32 s15, s30, s24
	s_addc_u32 s18, s31, s25
	s_lshl_b64 s[24:25], s[54:55], 2
	s_mul_i32 s60, s34, s20
	s_add_u32 s15, s15, s24
	s_addc_u32 s18, s18, s25
	s_ashr_i32 s61, s60, 31
	s_lshl_b64 s[24:25], s[60:61], 2
	s_add_u32 s44, s15, s24
	s_addc_u32 s45, s18, s25
	s_cmp_lt_i32 s22, 0
	s_cselect_b32 s18, s64, s22
	s_cmp_lt_i32 s23, 0
	v_readfirstlane_b32 s20, v0
	s_cselect_b32 s15, s65, s23
	v_mbcnt_lo_u32_b32 v1, -1, 0
	s_lshr_b32 s20, s20, 2
	v_mbcnt_hi_u32_b32 v10, -1, v1
	s_and_b32 s20, s20, 0x3ffffff0
	v_and_b32_e32 v1, 15, v10
	s_add_i32 s20, s20, s5
	v_lshrrev_b32_e32 v54, 2, v10
	v_or_b32_e32 v2, s20, v1
	v_and_b32_e32 v31, 28, v54
	v_mul_lo_u32 v2, v2, s11
	v_add_lshl_u32 v2, v2, v31, 1
	s_lshl_b32 s54, s39, 1
	s_mov_b32 s55, 0x20000
	buffer_load_dwordx2 v[22:23], v2, s[52:55], 0 offen
	buffer_load_dwordx2 v[24:25], v2, s[52:55], 0 offen offset:32
	buffer_load_dwordx2 v[26:27], v2, s[52:55], 0 offen offset:64
	;; [unrolled: 1-line block ×3, first 2 shown]
	s_add_i32 s18, s18, s62
	s_add_i32 s15, s15, s63
	s_sub_i32 s11, s5, s18
	s_max_i32 s11, s11, -1
	s_add_i32 s30, s15, s5
	s_add_i32 s24, s11, 1
	;; [unrolled: 1-line block ×3, first 2 shown]
	s_min_i32 s11, s11, s37
	s_add_i32 s11, s11, 63
	s_ashr_i32 s20, s11, 31
	s_lshr_b32 s20, s20, 26
	s_add_i32 s9, s42, s9
	s_add_i32 s25, s11, s20
	s_ashr_i32 s11, s9, 31
	s_abs_i32 s9, s9
	s_mul_hi_u32 s20, s9, s47
	v_cvt_f32_u32_e32 v2, s51
	s_mul_i32 s22, s20, s3
	s_sub_i32 s9, s9, s22
	s_andn2_b32 s24, s24, 63
	s_andn2_b32 s25, s25, 63
	s_xor_b32 s11, s11, s46
	s_add_i32 s22, s20, 1
	s_sub_i32 s23, s9, s3
	s_cmp_ge_u32 s9, s3
	v_rcp_iflag_f32_e32 v2, v2
	s_cselect_b32 s20, s22, s20
	s_cselect_b32 s9, s23, s9
	s_add_i32 s22, s20, 1
	s_cmp_ge_u32 s9, s3
	s_cselect_b32 s3, s22, s20
	v_mul_f32_e32 v2, 0x4f7ffffe, v2
	s_xor_b32 s3, s3, s11
	v_cvt_u32_f32_e32 v2, v2
	s_sub_i32 s3, s3, s11
	s_max_i32 s48, s3, 1
	s_mul_i32 s39, s48, s34
	s_add_i32 s3, s39, s48
	v_readfirstlane_b32 s31, v2
	v_mov_b32_e32 v2, s37
	v_mov_b32_e32 v3, s3
	s_max_i32 s20, s24, s39
	v_min3_i32 v2, s25, v2, v3
	s_mov_b32 s3, 0x8000003f
	v_readfirstlane_b32 s11, v2
	v_sub_u32_e32 v2, s20, v2
	v_cmp_lt_u32_e32 vcc, s3, v2
	s_mov_b64 s[22:23], -1
	s_cbranch_vccnz .LBB2_8
; %bb.7:
	v_readfirstlane_b32 s3, v0
	s_lshr_b32 s3, s3, 2
	s_and_b32 s3, s3, 0x3ffffff0
	v_or_b32_e32 v3, s3, v1
	v_add_u32_e32 v3, s5, v3
	v_bfrev_b32_e32 v4, 1
	v_cmp_gt_i32_e32 vcc, s36, v3
	v_mul_f32_e32 v2, s10, v11
	s_lshl_b32 s46, s36, 2
	v_cndmask_b32_e64 v4, v4, 0, vcc
	s_mov_b32 s47, s55
	v_lshl_add_u32 v3, v3, 2, v4
	s_mov_b64 s[22:23], 0
	buffer_store_dword v2, v3, s[44:47], 0 offen
.LBB2_8:
	v_mov_b32_e32 v5, 0
	s_andn2_b64 vcc, exec, s[22:23]
	v_mov_b32_e32 v4, 0
	v_mov_b32_e32 v3, 0
	;; [unrolled: 1-line block ×15, first 2 shown]
	s_cbranch_vccnz .LBB2_19
; %bb.9:
	s_sub_i32 s3, 0, s51
	s_mul_i32 s3, s3, s31
	s_mul_hi_u32 s3, s31, s3
	s_add_i32 s31, s31, s3
	s_load_dwordx2 s[0:1], s[0:1], 0x98
	s_mov_b32 s3, 0x7f800000
	s_ashr_i32 s52, s8, 31
	v_cmp_neq_f32_e64 s[8:9], |v11|, s3
	v_cmp_lt_i32_e32 vcc, -1, v11
	s_mov_b32 s54, 0x652b82fe
	s_abs_i32 s46, s6
	s_ashr_i32 s47, s6, 31
	s_or_b64 s[8:9], s[8:9], vcc
	v_cvt_f64_f32_e32 v[2:3], v11
	s_mov_b32 s55, 0x3ff71547
	s_cmp_eq_u32 s2, s57
	v_mul_f64 v[2:3], v[2:3], s[54:55]
	s_mul_hi_u32 s31, s46, s31
	s_cselect_b64 s[2:3], -1, 0
	s_mov_b32 s22, 0
	v_cvt_f32_f64_e32 v2, v[2:3]
	s_cmp_lt_i32 s34, 1
	s_mov_b32 s23, 0xff800000
	s_cbranch_scc1 .LBB2_12
; %bb.10:
	s_sub_i32 s2, s39, s48
	v_mov_b32_e32 v3, s37
	v_mov_b32_e32 v4, s39
	s_max_u32 s2, s24, s2
	v_min3_i32 v3, s25, v3, v4
	v_cmp_ge_i32_e32 vcc, s2, v3
	v_mov_b32_e32 v3, 0xff800000
	s_and_b64 vcc, s[8:9], vcc
	v_cndmask_b32_e32 v70, v3, v2, vcc
	v_cndmask_b32_e64 v21, 0, 1.0, vcc
	s_branch .LBB2_13
.LBB2_11:
	s_mov_b32 s56, s4
	s_load_dword s34, s[0:1], 0x8c
	s_waitcnt lgkmcnt(0)
	s_cmp_eq_u64 s[42:43], 0
	s_cbranch_scc0 .LBB2_5
	s_branch .LBB2_6
.LBB2_12:
	s_and_b64 vcc, s[2:3], s[8:9]
	v_mov_b32_e32 v3, 0xff800000
	v_cndmask_b32_e64 v21, 0, 1.0, vcc
	v_cndmask_b32_e32 v70, v3, v2, vcc
.LBB2_13:
	s_mul_i32 s3, s31, s51
	s_sub_i32 s3, s46, s3
	s_xor_b32 s2, s47, s52
	s_add_i32 s8, s31, 1
	s_sub_i32 s9, s3, s51
	s_cmp_ge_u32 s3, s51
	s_cselect_b32 s8, s8, s31
	s_cselect_b32 s3, s9, s3
	s_add_i32 s9, s8, 1
	s_cmp_ge_u32 s3, s51
	s_cselect_b32 s3, s9, s8
	s_xor_b32 s3, s3, s2
	s_sub_i32 s8, s3, s2
	s_mul_hi_i32 s3, s8, s16
	s_mul_i32 s2, s8, s16
	s_lshl_b64 s[2:3], s[2:3], 1
	s_add_u32 s16, s26, s2
	s_addc_u32 s24, s27, s3
	s_mul_hi_i32 s3, s8, s17
	s_mul_i32 s2, s8, s17
	s_lshl_b64 s[2:3], s[2:3], 1
	s_add_u32 s17, s28, s2
	s_mul_hi_i32 s9, s56, s49
	s_mul_i32 s8, s56, s49
	s_addc_u32 s25, s29, s3
	s_add_i32 s42, s42, 0
	s_lshl_b64 s[8:9], s[8:9], 1
	s_mul_hi_i32 s3, s56, s50
	s_mul_i32 s2, s56, s50
	s_add_u32 s8, s16, s8
	s_addc_u32 s9, s24, s9
	s_lshl_b64 s[2:3], s[2:3], 1
	s_add_u32 s24, s17, s2
	v_mov_b32_e32 v2, 0x3fb8aa3b
	s_addc_u32 s25, s25, s3
	s_waitcnt lgkmcnt(0)
	v_mul_f32_e32 v18, s0, v2
	v_mov_b32_e32 v2, 0x3f317218
	s_sub_i32 s0, s11, s20
	v_mul_f32_e32 v2, s10, v2
	s_add_i32 s0, s0, 63
	v_mul_f32_e32 v55, s1, v2
	s_ashr_i32 s1, s0, 31
	s_lshr_b32 s1, s1, 26
	s_add_i32 s0, s0, s1
	v_readfirstlane_b32 s1, v0
	s_lshr_b32 s1, s1, 6
	v_and_b32_e32 v2, 3, v10
	v_lshrrev_b32_e32 v56, 6, v10
	v_add_lshl_u32 v3, s1, v56, 3
	v_lshlrev_b32_e32 v4, 1, v2
	v_lshrrev_b32_e32 v6, 5, v10
	v_lshlrev_b32_e32 v8, 3, v1
	s_movk_i32 s1, 0x208
	v_mul_u32_u24_e32 v62, 0x410, v2
	v_lshlrev_b32_e32 v30, 4, v2
	v_add3_u32 v2, s20, v3, v4
	v_add3_u32 v5, s20, v4, v3
	v_and_b32_e32 v7, 4, v54
	v_mad_u32_u24 v8, v6, s1, v8
	v_add_u32_e32 v9, 16, v54
	v_lshlrev_b32_e32 v11, 1, v10
	v_add_u32_e32 v3, 32, v2
	v_or_b32_e32 v8, v8, v7
	v_lshrrev_b32_e32 v9, 3, v9
	v_lshlrev_b32_e32 v7, 1, v7
	v_mul_lo_u32 v3, s13, v3
	v_and_b32_e32 v4, 0x78, v11
	v_sub_u32_e32 v9, v9, v6
	v_lshlrev_b32_e32 v57, 1, v8
	s_movk_i32 s1, 0x410
	v_lshlrev_b32_e32 v8, 2, v10
	v_lshl_or_b32 v7, v1, 4, v7
	s_movk_i32 s28, 0x440
	v_lshl_add_u32 v63, v3, 1, v4
	v_add_u32_e32 v3, 33, v2
	v_mul_lo_u32 v2, s13, v2
	s_mul_i32 s26, s12, s42
	s_mul_i32 s27, s13, s42
	s_ashr_i32 s0, s0, 6
	v_mad_i32_i24 v58, v9, s1, v57
	v_add_u32_e32 v59, 0x80, v8
	v_add_u32_e32 v60, 64, v8
	v_mad_u32_u24 v61, v6, s28, v7
	v_mul_i32_i24_e32 v7, 0x440, v9
	v_or_b32_e32 v6, 3, v54
	v_lshlrev_b32_e32 v9, 4, v10
	v_and_b32_e32 v8, 12, v8
	s_movk_i32 s1, 0xc0
	v_add_u32_e32 v2, s13, v2
	s_add_i32 s26, s26, s43
	s_add_i32 s27, s27, s38
	s_mov_b32 s11, 0x20000
	v_bfe_u32 v12, v10, 4, 2
	s_max_i32 s0, s0, 1
	v_and_or_b32 v8, v9, s1, v8
	s_movk_i32 s1, 0x110
	v_mul_lo_u32 v3, s13, v3
	v_lshl_add_u32 v65, v2, 1, v4
	v_mul_lo_u32 v2, s13, v5
	v_add_u32_e32 v67, s20, v6
	v_mov_b32_e32 v6, 0
	s_lshl_b32 s10, s26, 1
	s_lshl_b32 s26, s27, 1
	s_mov_b32 s27, s11
	s_add_i32 s16, s5, 64
	s_min_i32 s17, s30, s37
	v_mad_u32_u24 v20, v12, s1, v8
	s_lshl_b32 s12, s12, 1
	v_mov_b32_e32 v19, v18
	s_lshl_b32 s29, s13, 7
	v_lshl_add_u32 v64, v3, 1, v4
	v_lshl_add_u32 v66, v2, 1, v4
	v_add_u32_e32 v68, s20, v31
	s_add_i32 s13, s18, s20
	v_add_u32_e32 v69, s20, v54
	s_lshl_b32 s30, s0, 6
	v_mov_b32_e32 v32, v18
	v_mov_b32_e32 v33, v18
	s_mov_b32 s31, 0x1000504
	s_mov_b32 s39, 0x3020706
	s_mov_b32 s42, 0x5040100
	v_add_u32_e32 v71, v61, v7
	v_mov_b32_e32 v72, 0xff800000
	s_mov_b32 s43, 0
	v_mov_b32_e32 v7, v6
	v_mov_b32_e32 v8, v6
	;; [unrolled: 1-line block ×15, first 2 shown]
.LBB2_14:                               ; =>This Inner Loop Header: Depth=1
	v_readfirstlane_b32 s0, v0
	s_lshr_b32 s2, s0, 2
	s_and_b32 s0, s2, 0x3ffffff0
	s_add_i32 s0, s0, s22
	v_add_u32_e32 v34, s0, v69
	v_mad_u64_u32 v[34:35], s[0:1], s12, v34, v[30:31]
	buffer_load_dwordx4 v[38:41], v34, s[8:11], 0 offen
	buffer_load_dwordx4 v[42:45], v34, s[8:11], 0 offen offset:64
	v_add_u32_e32 v46, s43, v66
	v_add_u32_e32 v47, s43, v65
	buffer_load_dwordx2 v[34:35], v46, s[24:27], 0 offen
	buffer_load_dwordx2 v[36:37], v47, s[24:27], 0 offen
	s_and_b32 s0, s2, 0xffffff0
	v_add_u32_e32 v46, s0, v54
	v_lshl_add_u32 v73, v46, 4, v62
	s_add_i32 s0, s20, s22
	s_add_i32 s0, s0, 64
	s_cmp_gt_i32 s0, s17
	s_cselect_b64 s[0:1], -1, 0
	s_add_i32 s2, s13, s22
	s_min_i32 s2, s2, s36
	s_cmp_gt_i32 s16, s2
	s_cselect_b64 s[2:3], -1, 0
	s_or_b64 s[0:1], s[0:1], s[2:3]
	s_andn2_b64 vcc, exec, s[0:1]
	s_waitcnt vmcnt(3)
	ds_write_b128 v73, v[38:41]
	s_waitcnt lgkmcnt(0)
	s_barrier
	ds_read2_b64 v[38:41], v57 offset1:32
	ds_read2_b64 v[78:81], v58 offset1:32
	ds_read2_b64 v[50:53], v57 offset0:64 offset1:96
	s_waitcnt lgkmcnt(2)
	v_mfma_f32_16x16x16_bf16 v[46:49], v[38:39], v[22:23], 0
	v_mfma_f32_16x16x16_bf16 v[38:41], v[40:41], v[22:23], 0
	s_waitcnt lgkmcnt(1)
	v_mfma_f32_16x16x16_bf16 v[46:49], v[78:79], v[24:25], v[46:49]
	v_mfma_f32_16x16x16_bf16 v[38:41], v[80:81], v[24:25], v[38:41]
	ds_read2_b64 v[78:81], v58 offset0:64 offset1:96
	s_waitcnt lgkmcnt(0)
	s_barrier
	v_mfma_f32_16x16x16_bf16 v[74:77], v[50:51], v[22:23], 0
	s_waitcnt vmcnt(2)
	ds_write_b128 v73, v[42:45]
	s_waitcnt lgkmcnt(0)
	s_barrier
	v_mfma_f32_16x16x16_bf16 v[50:53], v[52:53], v[22:23], 0
	v_mfma_f32_16x16x16_bf16 v[42:45], v[80:81], v[24:25], v[50:53]
	;; [unrolled: 1-line block ×3, first 2 shown]
	s_nop 5
	ds_read2_b64 v[50:53], v57 offset1:32
	s_waitcnt lgkmcnt(0)
	v_mfma_f32_16x16x16_bf16 v[46:49], v[50:51], v[26:27], v[46:49]
	v_mfma_f32_16x16x16_bf16 v[38:41], v[52:53], v[26:27], v[38:41]
	ds_read2_b64 v[50:53], v57 offset0:64 offset1:96
	s_waitcnt lgkmcnt(0)
	v_mfma_f32_16x16x16_bf16 v[74:77], v[50:51], v[26:27], v[74:77]
	v_mfma_f32_16x16x16_bf16 v[42:45], v[52:53], v[26:27], v[42:45]
	ds_read2_b64 v[50:53], v58 offset1:32
	s_waitcnt lgkmcnt(0)
	v_mfma_f32_16x16x16_bf16 v[46:49], v[50:51], v[28:29], v[46:49]
	s_nop 7
	v_mul_f32_e32 v46, v55, v46
	v_mfma_f32_16x16x16_bf16 v[38:41], v[52:53], v[28:29], v[38:41]
	ds_read2_b64 v[50:53], v58 offset0:64 offset1:96
	v_mul_f32_e32 v47, v55, v47
	v_mul_f32_e32 v48, v55, v48
	s_waitcnt lgkmcnt(0)
	v_mfma_f32_16x16x16_bf16 v[74:77], v[50:51], v[28:29], v[74:77]
	v_mul_f32_e32 v49, v55, v49
	s_nop 1
	v_mul_f32_e32 v38, v55, v38
	v_mul_f32_e32 v39, v55, v39
	v_mfma_f32_16x16x16_bf16 v[42:45], v[52:53], v[28:29], v[42:45]
	v_mul_f32_e32 v46, 0x4038aa3b, v46
	v_mul_f32_e32 v47, 0x4038aa3b, v47
	;; [unrolled: 1-line block ×6, first 2 shown]
	s_nop 1
	v_mul_f32_e32 v42, v55, v42
	v_mul_f32_e32 v43, v55, v43
	v_mul_f32_e32 v48, 0x4038aa3b, v48
	v_mul_f32_e32 v49, 0x4038aa3b, v49
	v_mul_f32_e32 v38, 0x4038aa3b, v38
	v_mul_f32_e32 v39, 0x4038aa3b, v39
	v_exp_f32_e32 v46, v46
	v_exp_f32_e32 v47, v47
	v_mul_f32_e32 v52, v55, v76
	v_mul_f32_e32 v53, v55, v77
	;; [unrolled: 1-line block ×10, first 2 shown]
	v_exp_f32_e32 v48, v48
	v_exp_f32_e32 v49, v49
	;; [unrolled: 1-line block ×4, first 2 shown]
	v_mul_f32_e32 v52, 0x4038aa3b, v52
	v_mul_f32_e32 v53, 0x4038aa3b, v53
	v_mul_f32_e32 v44, 0x4038aa3b, v44
	v_mul_f32_e32 v45, 0x4038aa3b, v45
	v_exp_f32_e32 v40, v40
	v_exp_f32_e32 v41, v41
	;; [unrolled: 1-line block ×10, first 2 shown]
	v_add_f32_e32 v46, 1.0, v46
	v_add_f32_e32 v47, 1.0, v47
	v_add_f32_e32 v48, 1.0, v48
	v_add_f32_e32 v49, 1.0, v49
	v_add_f32_e32 v73, 1.0, v38
	v_add_f32_e32 v74, 1.0, v39
	v_rcp_f32_e64 v39, -v47
	v_rcp_f32_e64 v38, -v46
	v_add_f32_e32 v75, 1.0, v40
	v_add_f32_e32 v76, 1.0, v41
	;; [unrolled: 1-line block ×6, first 2 shown]
	v_rcp_f32_e64 v41, -v49
	v_rcp_f32_e64 v40, -v48
	;; [unrolled: 1-line block ×4, first 2 shown]
	v_add_f32_e32 v52, 1.0, v52
	v_add_f32_e32 v53, 1.0, v53
	;; [unrolled: 1-line block ×4, first 2 shown]
	v_rcp_f32_e64 v45, -v76
	v_rcp_f32_e64 v44, -v75
	;; [unrolled: 1-line block ×10, first 2 shown]
	v_pk_fma_f32 v[46:47], v[38:39], 2.0, 1.0 op_sel_hi:[1,0,0]
	v_pk_fma_f32 v[38:39], v[40:41], 2.0, 1.0 op_sel_hi:[1,0,0]
	v_pk_mul_f32 v[40:41], v[18:19], v[46:47]
	v_pk_fma_f32 v[46:47], v[42:43], 2.0, 1.0 op_sel_hi:[1,0,0]
	v_pk_fma_f32 v[42:43], v[44:45], 2.0, 1.0 op_sel_hi:[1,0,0]
	v_pk_mul_f32 v[44:45], v[18:19], v[46:47]
	;; [unrolled: 3-line block ×4, first 2 shown]
	v_pk_mul_f32 v[42:43], v[32:33], v[42:43]
	v_pk_mul_f32 v[48:49], v[32:33], v[48:49]
	;; [unrolled: 1-line block ×4, first 2 shown]
	s_cbranch_vccnz .LBB2_16
; %bb.15:                               ;   in Loop: Header=BB2_14 Depth=1
	v_readfirstlane_b32 s0, v0
	s_lshr_b32 s0, s0, 2
	s_and_b32 s0, s0, 0x3ffffff0
	v_or_b32_e32 v73, s0, v1
	v_add_u32_e32 v73, s5, v73
	v_add_u32_e32 v74, s15, v73
	;; [unrolled: 1-line block ×3, first 2 shown]
	v_min_i32_e32 v77, s37, v74
	v_subrev_u32_e32 v76, s18, v73
	v_cmp_lt_i32_e64 s[2:3], v75, v77
	v_cmp_gt_i32_e32 vcc, s36, v73
	v_cmp_gt_i32_e64 s[0:1], v75, v76
	s_and_b64 s[2:3], s[2:3], vcc
	v_add_u32_e32 v73, 1, v75
	v_mov_b32_e32 v74, s23
	s_and_b64 s[0:1], s[2:3], s[0:1]
	v_cmp_lt_i32_e64 s[2:3], v73, v77
	v_cndmask_b32_e64 v40, v74, v40, s[0:1]
	v_cmp_gt_i32_e64 s[0:1], v73, v76
	s_and_b64 s[2:3], s[2:3], vcc
	v_add_u32_e32 v73, 2, v75
	s_and_b64 s[0:1], s[2:3], s[0:1]
	v_cmp_lt_i32_e64 s[2:3], v73, v77
	v_cndmask_b32_e64 v41, v72, v41, s[0:1]
	v_cmp_gt_i32_e64 s[0:1], v73, v76
	s_and_b64 s[2:3], s[2:3], vcc
	v_add_u32_e32 v73, s22, v67
	;; [unrolled: 6-line block ×14, first 2 shown]
	s_and_b64 s[0:1], s[2:3], s[0:1]
	v_cmp_lt_i32_e64 s[2:3], v73, v77
	v_cndmask_b32_e64 v46, v72, v46, s[0:1]
	v_cmp_gt_i32_e64 s[0:1], v73, v76
	s_and_b64 s[2:3], s[2:3], vcc
	s_and_b64 vcc, s[2:3], s[0:1]
	v_cndmask_b32_e32 v47, v72, v47, vcc
.LBB2_16:                               ;   in Loop: Header=BB2_14 Depth=1
	v_max3_f32 v73, v40, s23, v41
	v_max3_f32 v73, v73, v38, v39
	;; [unrolled: 1-line block ×8, first 2 shown]
	ds_bpermute_b32 v74, v59, v73
	v_add_u32_e32 v79, s43, v63
	s_waitcnt lgkmcnt(0)
	s_barrier
	v_add_u32_e32 v80, s43, v64
	v_max_f32_e32 v74, v74, v74
	v_max_f32_e32 v73, v73, v74
	buffer_load_dwordx2 v[74:75], v79, s[24:27], 0 offen
	buffer_load_dwordx2 v[76:77], v80, s[24:27], 0 offen
	ds_bpermute_b32 v78, v60, v73
	v_readfirstlane_b32 s0, v0
	s_lshr_b32 s0, s0, 6
	s_add_i32 s43, s43, s29
	s_add_i32 s22, s22, 64
	s_waitcnt lgkmcnt(0)
	v_max3_f32 v73, v70, v73, v78
	v_cmp_neq_f32_e32 vcc, s23, v73
	s_cmp_lg_u32 s30, s22
	s_nop 0
	v_cndmask_b32_e32 v78, 0, v73, vcc
	v_sub_f32_e32 v42, v42, v78
	v_exp_f32_e32 v79, v42
	v_sub_f32_e32 v42, v43, v78
	v_exp_f32_e32 v80, v42
	;; [unrolled: 2-line block ×4, first 2 shown]
	v_sub_f32_e32 v42, v48, v78
	v_sub_f32_e32 v40, v40, v78
	;; [unrolled: 1-line block ×3, first 2 shown]
	v_exp_f32_e32 v83, v42
	v_sub_f32_e32 v42, v49, v78
	v_exp_f32_e32 v40, v40
	v_exp_f32_e32 v41, v41
	v_sub_f32_e32 v38, v38, v78
	v_exp_f32_e32 v84, v42
	v_sub_f32_e32 v42, v52, v78
	;; [unrolled: 2-line block ×8, first 2 shown]
	v_exp_f32_e32 v45, v45
	v_exp_f32_e32 v47, v42
	v_add_f32_e32 v42, v40, v41
	v_add_f32_e32 v42, v38, v42
	;; [unrolled: 1-line block ×5, first 2 shown]
	v_sub_f32_e32 v42, v70, v78
	v_exp_f32_e32 v46, v42
	s_waitcnt vmcnt(2)
	v_perm_b32 v42, v34, v36, s31
	v_perm_b32 v34, v34, v36, s39
	;; [unrolled: 1-line block ×4, first 2 shown]
	v_add_u32_e32 v37, s0, v56
	v_mad_u64_u32 v[48:49], s[0:1], v37, s28, v[20:21]
	ds_write2_b32 v48, v42, v34 offset1:4
	ds_write2_b32 v48, v36, v35 offset0:8 offset1:12
	s_waitcnt lgkmcnt(0)
	s_barrier
	ds_read2_b64 v[34:37], v61 offset1:34
	v_cvt_pk_bf16_f32 v40, v40, s0
	v_cvt_pk_bf16_f32 v41, v41, s0
	v_pk_mul_f32 v[8:9], v[8:9], v[46:47] op_sel_hi:[1,0]
	v_pk_mul_f32 v[6:7], v[6:7], v[46:47] op_sel_hi:[1,0]
	v_perm_b32 v50, v41, v40, s42
	v_cvt_pk_bf16_f32 v51, v38, v39
	v_pk_mul_f32 v[16:17], v[16:17], v[46:47] op_sel_hi:[1,0]
	v_pk_mul_f32 v[14:15], v[14:15], v[46:47] op_sel_hi:[1,0]
	s_waitcnt lgkmcnt(0)
	v_mfma_f32_16x16x16_bf16 v[6:9], v[34:35], v[50:51], v[6:9]
	v_cvt_pk_bf16_f32 v34, v44, s0
	v_cvt_pk_bf16_f32 v35, v45, s0
	ds_read2_b64 v[38:41], v61 offset0:68 offset1:102
	v_mfma_f32_16x16x16_bf16 v[14:17], v[36:37], v[50:51], v[14:17]
	v_perm_b32 v52, v35, v34, s42
	ds_read2_b64 v[34:37], v71 offset1:34
	v_pk_mul_f32 v[12:13], v[12:13], v[46:47] op_sel_hi:[1,0]
	v_pk_mul_f32 v[10:11], v[10:11], v[46:47] op_sel_hi:[1,0]
	v_cvt_pk_bf16_f32 v53, v79, v80
	v_pk_mul_f32 v[4:5], v[4:5], v[46:47] op_sel_hi:[1,0]
	v_pk_mul_f32 v[2:3], v[2:3], v[46:47] op_sel_hi:[1,0]
	s_waitcnt lgkmcnt(1)
	v_mfma_f32_16x16x16_bf16 v[10:13], v[38:39], v[50:51], v[10:13]
	ds_read2_b64 v[42:45], v71 offset0:68 offset1:102
	s_waitcnt vmcnt(0)
	v_perm_b32 v38, v74, v76, s31
	v_perm_b32 v39, v74, v76, s39
	s_waitcnt lgkmcnt(1)
	v_mfma_f32_16x16x16_bf16 v[6:9], v[34:35], v[52:53], v[6:9]
	v_perm_b32 v34, v75, v77, s39
	s_waitcnt lgkmcnt(0)
	s_barrier
	v_mfma_f32_16x16x16_bf16 v[2:5], v[40:41], v[50:51], v[2:5]
	v_perm_b32 v40, v75, v77, s31
	ds_write2_b32 v48, v38, v39 offset1:4
	ds_write2_b32 v48, v40, v34 offset0:8 offset1:12
	s_waitcnt lgkmcnt(0)
	v_mfma_f32_16x16x16_bf16 v[14:17], v[36:37], v[52:53], v[14:17]
	s_barrier
	ds_read2_b64 v[34:37], v61 offset1:34
	v_cvt_pk_bf16_f32 v38, v81, s0
	v_cvt_pk_bf16_f32 v39, v82, s0
	v_mfma_f32_16x16x16_bf16 v[10:13], v[42:43], v[52:53], v[10:13]
	v_add_f32_e32 v48, v79, v88
	v_perm_b32 v42, v39, v38, s42
	v_cvt_pk_bf16_f32 v43, v83, v84
	ds_read2_b64 v[38:41], v61 offset0:68 offset1:102
	v_mfma_f32_16x16x16_bf16 v[2:5], v[44:45], v[52:53], v[2:5]
	s_waitcnt lgkmcnt(1)
	v_mfma_f32_16x16x16_bf16 v[6:9], v[34:35], v[42:43], v[6:9]
	v_add_f32_e32 v34, v80, v48
	v_add_f32_e32 v34, v81, v34
	;; [unrolled: 1-line block ×4, first 2 shown]
	v_mfma_f32_16x16x16_bf16 v[14:17], v[36:37], v[42:43], v[14:17]
	v_add_f32_e32 v44, v84, v34
	ds_read2_b64 v[34:37], v71 offset1:34
	s_waitcnt lgkmcnt(1)
	v_mfma_f32_16x16x16_bf16 v[10:13], v[38:39], v[42:43], v[10:13]
	v_add_f32_e32 v38, v85, v44
	v_cvt_pk_bf16_f32 v39, v85, s0
	v_add_f32_e32 v38, v86, v38
	v_mfma_f32_16x16x16_bf16 v[2:5], v[40:41], v[42:43], v[2:5]
	v_cvt_pk_bf16_f32 v40, v86, s0
	v_perm_b32 v42, v40, v39, s42
	v_cvt_pk_bf16_f32 v43, v87, v47
	s_waitcnt lgkmcnt(0)
	s_nop 0
	v_mfma_f32_16x16x16_bf16 v[6:9], v[34:35], v[42:43], v[6:9]
	v_add_f32_e32 v34, v87, v38
	v_add_f32_e32 v34, v47, v34
	ds_read2_b64 v[38:41], v71 offset0:68 offset1:102
	ds_bpermute_b32 v35, v59, v34
	v_mfma_f32_16x16x16_bf16 v[14:17], v[36:37], v[42:43], v[14:17]
	s_waitcnt lgkmcnt(0)
	s_barrier
	v_add_f32_e32 v34, v34, v35
	ds_bpermute_b32 v35, v60, v34
	v_mfma_f32_16x16x16_bf16 v[10:13], v[38:39], v[42:43], v[10:13]
	s_waitcnt lgkmcnt(0)
	v_add_f32_e32 v34, v34, v35
	v_mfma_f32_16x16x16_bf16 v[2:5], v[40:41], v[42:43], v[2:5]
	v_fmac_f32_e32 v34, v21, v46
	s_cbranch_scc0 .LBB2_18
; %bb.17:                               ;   in Loop: Header=BB2_14 Depth=1
	v_mov_b32_e32 v70, v73
	v_mov_b32_e32 v21, v34
	s_branch .LBB2_14
.LBB2_18:
	s_mov_b32 s0, 0x652b82fe
	v_cvt_f64_f32_e32 v[18:19], v73
	s_mov_b32 s1, 0x3ff71547
	s_setreg_imm32_b32 hwreg(HW_REG_MODE, 2, 2), 0
	v_div_scale_f64 v[20:21], s[2:3], s[0:1], s[0:1], v[18:19]
	v_rcp_f64_e32 v[22:23], v[20:21]
	s_lshl_b32 s46, s36, 2
	s_mov_b32 s47, 0x20000
	v_fma_f64 v[24:25], -v[20:21], v[22:23], 1.0
	v_fmac_f64_e32 v[22:23], v[22:23], v[24:25]
	v_fma_f64 v[24:25], -v[20:21], v[22:23], 1.0
	v_fmac_f64_e32 v[22:23], v[22:23], v[24:25]
	v_div_scale_f64 v[24:25], vcc, v[18:19], s[0:1], v[18:19]
	v_mul_f64 v[26:27], v[24:25], v[22:23]
	v_fma_f64 v[20:21], -v[20:21], v[26:27], v[24:25]
	v_log_f32_e32 v24, v34
	s_nop 0
	v_div_fmas_f64 v[20:21], v[20:21], v[22:23], v[26:27]
	v_div_fixup_f64 v[18:19], v[20:21], s[0:1], v[18:19]
	s_mov_b32 s0, 0x3f317217
	v_mul_f32_e32 v20, 0x3f317217, v24
	v_fma_f32 v20, v24, s0, -v20
	v_fmamk_f32 v20, v24, 0x3377d1cf, v20
	s_mov_b32 s0, 0x7f800000
	v_fmac_f32_e32 v20, 0x3f317217, v24
	v_cmp_lt_f32_e64 vcc, |v24|, s0
	v_readfirstlane_b32 s0, v0
	s_lshr_b32 s0, s0, 2
	v_cndmask_b32_e32 v20, v24, v20, vcc
	v_cvt_f64_f32_e32 v[20:21], v20
	v_add_f64 v[18:19], v[18:19], v[20:21]
	s_and_b32 s0, s0, 0x3ffffff0
	v_cvt_f32_f64_e32 v18, v[18:19]
	v_or_b32_e32 v19, s0, v1
	v_add_u32_e32 v19, s5, v19
	v_bfrev_b32_e32 v20, 1
	v_cmp_gt_i32_e32 vcc, s36, v19
	s_nop 1
	v_cndmask_b32_e64 v20, v20, 0, vcc
	v_lshl_add_u32 v19, v19, 2, v20
	buffer_store_dword v18, v19, s[44:47], 0 offen
	v_div_scale_f32 v18, s[0:1], v34, v34, 1.0
	v_rcp_f32_e32 v19, v18
	v_div_scale_f32 v20, vcc, 1.0, v34, 1.0
	s_setreg_imm32_b32 hwreg(HW_REG_MODE, 4, 2), 3
	v_fma_f32 v21, -v18, v19, 1.0
	v_fmac_f32_e32 v19, v21, v19
	v_mul_f32_e32 v21, v20, v19
	v_fma_f32 v22, -v18, v21, v20
	v_fmac_f32_e32 v21, v22, v19
	v_fma_f32 v18, -v18, v21, v20
	s_setreg_imm32_b32 hwreg(HW_REG_MODE, 4, 2), 0
	v_div_fmas_f32 v18, v18, v19, v21
	v_div_fixup_f32 v18, v18, v34, 1.0
	v_cmp_neq_f32_e32 vcc, 0, v34
	s_nop 1
	v_cndmask_b32_e32 v22, 0, v18, vcc
	v_pk_mul_f32 v[18:19], v[22:23], v[6:7] op_sel_hi:[0,1]
	v_pk_mul_f32 v[20:21], v[22:23], v[8:9] op_sel_hi:[0,1]
	;; [unrolled: 1-line block ×8, first 2 shown]
.LBB2_19:
	s_mul_i32 s0, s35, s14
	s_mul_hi_u32 s1, 0, s14
	s_add_i32 s0, s1, s0
	s_add_i32 s8, s0, s38
	s_mul_hi_i32 s1, s19, s6
	s_mul_i32 s0, s19, s6
	s_lshl_b64 s[0:1], s[0:1], 2
	s_add_u32 s2, s40, s0
	s_addc_u32 s3, s41, s1
	s_mul_hi_i32 s1, s7, s4
	s_mul_i32 s0, s7, s4
	s_lshl_b64 s[0:1], s[0:1], 2
	s_add_u32 s2, s2, s0
	s_mul_i32 s0, s34, s21
	s_addc_u32 s3, s3, s1
	s_ashr_i32 s1, s0, 31
	s_lshl_b64 s[0:1], s[0:1], 2
	s_add_u32 s0, s2, s0
	v_readfirstlane_b32 s2, v0
	s_addc_u32 s1, s3, s1
	s_lshr_b32 s2, s2, 2
	s_and_b32 s2, s2, 0x3ffffff0
	v_or_b32_e32 v0, s2, v1
	v_add_u32_e32 v10, s5, v0
	v_lshl_or_b32 v0, s33, 6, v31
	v_mad_u64_u32 v[0:1], s[2:3], v10, s14, v[0:1]
	v_bfrev_b32_e32 v1, 1
	v_cmp_gt_i32_e32 vcc, s36, v10
	s_lshl_b32 s2, s8, 2
	s_mov_b32 s3, 0x20000
	v_cndmask_b32_e64 v1, v1, 0, vcc
	v_lshl_add_u32 v0, v0, 2, v1
	buffer_store_dwordx4 v[18:21], v0, s[0:3], 0 offen
	buffer_store_dwordx4 v[14:17], v0, s[0:3], 0 offen offset:64
	buffer_store_dwordx4 v[6:9], v0, s[0:3], 0 offen offset:128
	;; [unrolled: 1-line block ×3, first 2 shown]
	s_endpgm
	.section	.rodata,"a",@progbits
	.p2align	6, 0x0
	.amdhsa_kernel _ZN7ck_tile6kentryINS_6gfx9_tELi3ENS_20FmhaFwdSplitKVKernelINS_33BlockFmhaFwdSplitKVPipelineQRKSVSINS_34BlockFmhaFwdSplitKVPipelineProblemIDF16bDF16bDF16bffDF16bfDF16bffNS_13TileFmhaShapeINS_8sequenceIJLi64ELi64ELi32ELi64ELi32ELi64EEEENS6_IJLi4ELi1ELi1EEEENS6_IJLi16ELi16ELi16EEEES8_S9_Lb1EEELb0ENS_17ComposedAttentionILj4ELb1EEENS_30SimplifiedGenericAttentionMaskILb1EEENS_24TileFmhaFwdSplitKVTraitsILb1ELb0ELb0ELb0ELb1ELNS_22BlockAttentionBiasEnumE0ELb0ELb1ELb0ELb0ELb0ELb0ELin1ELb0EEEEENS_46BlockFmhaFwdSplitKVPipelineQRKSVSDefaultPolicyEEENS_17Default2DEpilogueINS_24Default2DEpilogueProblemIffLb0ELb0ELb1EEEvEEEEJNSP_14BatchModeKargsEEEENSt9enable_ifIXnt26kattr_no_packed_fp32_ops_vIT_EEvE4typeEDpT2_
		.amdhsa_group_segment_fixed_size 4352
		.amdhsa_private_segment_fixed_size 0
		.amdhsa_kernarg_size 448
		.amdhsa_user_sgpr_count 2
		.amdhsa_user_sgpr_dispatch_ptr 0
		.amdhsa_user_sgpr_queue_ptr 0
		.amdhsa_user_sgpr_kernarg_segment_ptr 1
		.amdhsa_user_sgpr_dispatch_id 0
		.amdhsa_user_sgpr_kernarg_preload_length 0
		.amdhsa_user_sgpr_kernarg_preload_offset 0
		.amdhsa_user_sgpr_private_segment_size 0
		.amdhsa_uses_dynamic_stack 0
		.amdhsa_enable_private_segment 0
		.amdhsa_system_sgpr_workgroup_id_x 1
		.amdhsa_system_sgpr_workgroup_id_y 1
		.amdhsa_system_sgpr_workgroup_id_z 1
		.amdhsa_system_sgpr_workgroup_info 0
		.amdhsa_system_vgpr_workitem_id 0
		.amdhsa_next_free_vgpr 89
		.amdhsa_next_free_sgpr 66
		.amdhsa_accum_offset 92
		.amdhsa_reserve_vcc 1
		.amdhsa_float_round_mode_32 0
		.amdhsa_float_round_mode_16_64 0
		.amdhsa_float_denorm_mode_32 0
		.amdhsa_float_denorm_mode_16_64 3
		.amdhsa_dx10_clamp 1
		.amdhsa_ieee_mode 1
		.amdhsa_fp16_overflow 0
		.amdhsa_tg_split 0
		.amdhsa_exception_fp_ieee_invalid_op 0
		.amdhsa_exception_fp_denorm_src 0
		.amdhsa_exception_fp_ieee_div_zero 0
		.amdhsa_exception_fp_ieee_overflow 0
		.amdhsa_exception_fp_ieee_underflow 0
		.amdhsa_exception_fp_ieee_inexact 0
		.amdhsa_exception_int_div_zero 0
	.end_amdhsa_kernel
	.section	.text._ZN7ck_tile6kentryINS_6gfx9_tELi3ENS_20FmhaFwdSplitKVKernelINS_33BlockFmhaFwdSplitKVPipelineQRKSVSINS_34BlockFmhaFwdSplitKVPipelineProblemIDF16bDF16bDF16bffDF16bfDF16bffNS_13TileFmhaShapeINS_8sequenceIJLi64ELi64ELi32ELi64ELi32ELi64EEEENS6_IJLi4ELi1ELi1EEEENS6_IJLi16ELi16ELi16EEEES8_S9_Lb1EEELb0ENS_17ComposedAttentionILj4ELb1EEENS_30SimplifiedGenericAttentionMaskILb1EEENS_24TileFmhaFwdSplitKVTraitsILb1ELb0ELb0ELb0ELb1ELNS_22BlockAttentionBiasEnumE0ELb0ELb1ELb0ELb0ELb0ELb0ELin1ELb0EEEEENS_46BlockFmhaFwdSplitKVPipelineQRKSVSDefaultPolicyEEENS_17Default2DEpilogueINS_24Default2DEpilogueProblemIffLb0ELb0ELb1EEEvEEEEJNSP_14BatchModeKargsEEEENSt9enable_ifIXnt26kattr_no_packed_fp32_ops_vIT_EEvE4typeEDpT2_,"axG",@progbits,_ZN7ck_tile6kentryINS_6gfx9_tELi3ENS_20FmhaFwdSplitKVKernelINS_33BlockFmhaFwdSplitKVPipelineQRKSVSINS_34BlockFmhaFwdSplitKVPipelineProblemIDF16bDF16bDF16bffDF16bfDF16bffNS_13TileFmhaShapeINS_8sequenceIJLi64ELi64ELi32ELi64ELi32ELi64EEEENS6_IJLi4ELi1ELi1EEEENS6_IJLi16ELi16ELi16EEEES8_S9_Lb1EEELb0ENS_17ComposedAttentionILj4ELb1EEENS_30SimplifiedGenericAttentionMaskILb1EEENS_24TileFmhaFwdSplitKVTraitsILb1ELb0ELb0ELb0ELb1ELNS_22BlockAttentionBiasEnumE0ELb0ELb1ELb0ELb0ELb0ELb0ELin1ELb0EEEEENS_46BlockFmhaFwdSplitKVPipelineQRKSVSDefaultPolicyEEENS_17Default2DEpilogueINS_24Default2DEpilogueProblemIffLb0ELb0ELb1EEEvEEEEJNSP_14BatchModeKargsEEEENSt9enable_ifIXnt26kattr_no_packed_fp32_ops_vIT_EEvE4typeEDpT2_,comdat
.Lfunc_end2:
	.size	_ZN7ck_tile6kentryINS_6gfx9_tELi3ENS_20FmhaFwdSplitKVKernelINS_33BlockFmhaFwdSplitKVPipelineQRKSVSINS_34BlockFmhaFwdSplitKVPipelineProblemIDF16bDF16bDF16bffDF16bfDF16bffNS_13TileFmhaShapeINS_8sequenceIJLi64ELi64ELi32ELi64ELi32ELi64EEEENS6_IJLi4ELi1ELi1EEEENS6_IJLi16ELi16ELi16EEEES8_S9_Lb1EEELb0ENS_17ComposedAttentionILj4ELb1EEENS_30SimplifiedGenericAttentionMaskILb1EEENS_24TileFmhaFwdSplitKVTraitsILb1ELb0ELb0ELb0ELb1ELNS_22BlockAttentionBiasEnumE0ELb0ELb1ELb0ELb0ELb0ELb0ELin1ELb0EEEEENS_46BlockFmhaFwdSplitKVPipelineQRKSVSDefaultPolicyEEENS_17Default2DEpilogueINS_24Default2DEpilogueProblemIffLb0ELb0ELb1EEEvEEEEJNSP_14BatchModeKargsEEEENSt9enable_ifIXnt26kattr_no_packed_fp32_ops_vIT_EEvE4typeEDpT2_, .Lfunc_end2-_ZN7ck_tile6kentryINS_6gfx9_tELi3ENS_20FmhaFwdSplitKVKernelINS_33BlockFmhaFwdSplitKVPipelineQRKSVSINS_34BlockFmhaFwdSplitKVPipelineProblemIDF16bDF16bDF16bffDF16bfDF16bffNS_13TileFmhaShapeINS_8sequenceIJLi64ELi64ELi32ELi64ELi32ELi64EEEENS6_IJLi4ELi1ELi1EEEENS6_IJLi16ELi16ELi16EEEES8_S9_Lb1EEELb0ENS_17ComposedAttentionILj4ELb1EEENS_30SimplifiedGenericAttentionMaskILb1EEENS_24TileFmhaFwdSplitKVTraitsILb1ELb0ELb0ELb0ELb1ELNS_22BlockAttentionBiasEnumE0ELb0ELb1ELb0ELb0ELb0ELb0ELin1ELb0EEEEENS_46BlockFmhaFwdSplitKVPipelineQRKSVSDefaultPolicyEEENS_17Default2DEpilogueINS_24Default2DEpilogueProblemIffLb0ELb0ELb1EEEvEEEEJNSP_14BatchModeKargsEEEENSt9enable_ifIXnt26kattr_no_packed_fp32_ops_vIT_EEvE4typeEDpT2_
                                        ; -- End function
	.set _ZN7ck_tile6kentryINS_6gfx9_tELi3ENS_20FmhaFwdSplitKVKernelINS_33BlockFmhaFwdSplitKVPipelineQRKSVSINS_34BlockFmhaFwdSplitKVPipelineProblemIDF16bDF16bDF16bffDF16bfDF16bffNS_13TileFmhaShapeINS_8sequenceIJLi64ELi64ELi32ELi64ELi32ELi64EEEENS6_IJLi4ELi1ELi1EEEENS6_IJLi16ELi16ELi16EEEES8_S9_Lb1EEELb0ENS_17ComposedAttentionILj4ELb1EEENS_30SimplifiedGenericAttentionMaskILb1EEENS_24TileFmhaFwdSplitKVTraitsILb1ELb0ELb0ELb0ELb1ELNS_22BlockAttentionBiasEnumE0ELb0ELb1ELb0ELb0ELb0ELb0ELin1ELb0EEEEENS_46BlockFmhaFwdSplitKVPipelineQRKSVSDefaultPolicyEEENS_17Default2DEpilogueINS_24Default2DEpilogueProblemIffLb0ELb0ELb1EEEvEEEEJNSP_14BatchModeKargsEEEENSt9enable_ifIXnt26kattr_no_packed_fp32_ops_vIT_EEvE4typeEDpT2_.num_vgpr, 89
	.set _ZN7ck_tile6kentryINS_6gfx9_tELi3ENS_20FmhaFwdSplitKVKernelINS_33BlockFmhaFwdSplitKVPipelineQRKSVSINS_34BlockFmhaFwdSplitKVPipelineProblemIDF16bDF16bDF16bffDF16bfDF16bffNS_13TileFmhaShapeINS_8sequenceIJLi64ELi64ELi32ELi64ELi32ELi64EEEENS6_IJLi4ELi1ELi1EEEENS6_IJLi16ELi16ELi16EEEES8_S9_Lb1EEELb0ENS_17ComposedAttentionILj4ELb1EEENS_30SimplifiedGenericAttentionMaskILb1EEENS_24TileFmhaFwdSplitKVTraitsILb1ELb0ELb0ELb0ELb1ELNS_22BlockAttentionBiasEnumE0ELb0ELb1ELb0ELb0ELb0ELb0ELin1ELb0EEEEENS_46BlockFmhaFwdSplitKVPipelineQRKSVSDefaultPolicyEEENS_17Default2DEpilogueINS_24Default2DEpilogueProblemIffLb0ELb0ELb1EEEvEEEEJNSP_14BatchModeKargsEEEENSt9enable_ifIXnt26kattr_no_packed_fp32_ops_vIT_EEvE4typeEDpT2_.num_agpr, 0
	.set _ZN7ck_tile6kentryINS_6gfx9_tELi3ENS_20FmhaFwdSplitKVKernelINS_33BlockFmhaFwdSplitKVPipelineQRKSVSINS_34BlockFmhaFwdSplitKVPipelineProblemIDF16bDF16bDF16bffDF16bfDF16bffNS_13TileFmhaShapeINS_8sequenceIJLi64ELi64ELi32ELi64ELi32ELi64EEEENS6_IJLi4ELi1ELi1EEEENS6_IJLi16ELi16ELi16EEEES8_S9_Lb1EEELb0ENS_17ComposedAttentionILj4ELb1EEENS_30SimplifiedGenericAttentionMaskILb1EEENS_24TileFmhaFwdSplitKVTraitsILb1ELb0ELb0ELb0ELb1ELNS_22BlockAttentionBiasEnumE0ELb0ELb1ELb0ELb0ELb0ELb0ELin1ELb0EEEEENS_46BlockFmhaFwdSplitKVPipelineQRKSVSDefaultPolicyEEENS_17Default2DEpilogueINS_24Default2DEpilogueProblemIffLb0ELb0ELb1EEEvEEEEJNSP_14BatchModeKargsEEEENSt9enable_ifIXnt26kattr_no_packed_fp32_ops_vIT_EEvE4typeEDpT2_.numbered_sgpr, 66
	.set _ZN7ck_tile6kentryINS_6gfx9_tELi3ENS_20FmhaFwdSplitKVKernelINS_33BlockFmhaFwdSplitKVPipelineQRKSVSINS_34BlockFmhaFwdSplitKVPipelineProblemIDF16bDF16bDF16bffDF16bfDF16bffNS_13TileFmhaShapeINS_8sequenceIJLi64ELi64ELi32ELi64ELi32ELi64EEEENS6_IJLi4ELi1ELi1EEEENS6_IJLi16ELi16ELi16EEEES8_S9_Lb1EEELb0ENS_17ComposedAttentionILj4ELb1EEENS_30SimplifiedGenericAttentionMaskILb1EEENS_24TileFmhaFwdSplitKVTraitsILb1ELb0ELb0ELb0ELb1ELNS_22BlockAttentionBiasEnumE0ELb0ELb1ELb0ELb0ELb0ELb0ELin1ELb0EEEEENS_46BlockFmhaFwdSplitKVPipelineQRKSVSDefaultPolicyEEENS_17Default2DEpilogueINS_24Default2DEpilogueProblemIffLb0ELb0ELb1EEEvEEEEJNSP_14BatchModeKargsEEEENSt9enable_ifIXnt26kattr_no_packed_fp32_ops_vIT_EEvE4typeEDpT2_.num_named_barrier, 0
	.set _ZN7ck_tile6kentryINS_6gfx9_tELi3ENS_20FmhaFwdSplitKVKernelINS_33BlockFmhaFwdSplitKVPipelineQRKSVSINS_34BlockFmhaFwdSplitKVPipelineProblemIDF16bDF16bDF16bffDF16bfDF16bffNS_13TileFmhaShapeINS_8sequenceIJLi64ELi64ELi32ELi64ELi32ELi64EEEENS6_IJLi4ELi1ELi1EEEENS6_IJLi16ELi16ELi16EEEES8_S9_Lb1EEELb0ENS_17ComposedAttentionILj4ELb1EEENS_30SimplifiedGenericAttentionMaskILb1EEENS_24TileFmhaFwdSplitKVTraitsILb1ELb0ELb0ELb0ELb1ELNS_22BlockAttentionBiasEnumE0ELb0ELb1ELb0ELb0ELb0ELb0ELin1ELb0EEEEENS_46BlockFmhaFwdSplitKVPipelineQRKSVSDefaultPolicyEEENS_17Default2DEpilogueINS_24Default2DEpilogueProblemIffLb0ELb0ELb1EEEvEEEEJNSP_14BatchModeKargsEEEENSt9enable_ifIXnt26kattr_no_packed_fp32_ops_vIT_EEvE4typeEDpT2_.private_seg_size, 0
	.set _ZN7ck_tile6kentryINS_6gfx9_tELi3ENS_20FmhaFwdSplitKVKernelINS_33BlockFmhaFwdSplitKVPipelineQRKSVSINS_34BlockFmhaFwdSplitKVPipelineProblemIDF16bDF16bDF16bffDF16bfDF16bffNS_13TileFmhaShapeINS_8sequenceIJLi64ELi64ELi32ELi64ELi32ELi64EEEENS6_IJLi4ELi1ELi1EEEENS6_IJLi16ELi16ELi16EEEES8_S9_Lb1EEELb0ENS_17ComposedAttentionILj4ELb1EEENS_30SimplifiedGenericAttentionMaskILb1EEENS_24TileFmhaFwdSplitKVTraitsILb1ELb0ELb0ELb0ELb1ELNS_22BlockAttentionBiasEnumE0ELb0ELb1ELb0ELb0ELb0ELb0ELin1ELb0EEEEENS_46BlockFmhaFwdSplitKVPipelineQRKSVSDefaultPolicyEEENS_17Default2DEpilogueINS_24Default2DEpilogueProblemIffLb0ELb0ELb1EEEvEEEEJNSP_14BatchModeKargsEEEENSt9enable_ifIXnt26kattr_no_packed_fp32_ops_vIT_EEvE4typeEDpT2_.uses_vcc, 1
	.set _ZN7ck_tile6kentryINS_6gfx9_tELi3ENS_20FmhaFwdSplitKVKernelINS_33BlockFmhaFwdSplitKVPipelineQRKSVSINS_34BlockFmhaFwdSplitKVPipelineProblemIDF16bDF16bDF16bffDF16bfDF16bffNS_13TileFmhaShapeINS_8sequenceIJLi64ELi64ELi32ELi64ELi32ELi64EEEENS6_IJLi4ELi1ELi1EEEENS6_IJLi16ELi16ELi16EEEES8_S9_Lb1EEELb0ENS_17ComposedAttentionILj4ELb1EEENS_30SimplifiedGenericAttentionMaskILb1EEENS_24TileFmhaFwdSplitKVTraitsILb1ELb0ELb0ELb0ELb1ELNS_22BlockAttentionBiasEnumE0ELb0ELb1ELb0ELb0ELb0ELb0ELin1ELb0EEEEENS_46BlockFmhaFwdSplitKVPipelineQRKSVSDefaultPolicyEEENS_17Default2DEpilogueINS_24Default2DEpilogueProblemIffLb0ELb0ELb1EEEvEEEEJNSP_14BatchModeKargsEEEENSt9enable_ifIXnt26kattr_no_packed_fp32_ops_vIT_EEvE4typeEDpT2_.uses_flat_scratch, 0
	.set _ZN7ck_tile6kentryINS_6gfx9_tELi3ENS_20FmhaFwdSplitKVKernelINS_33BlockFmhaFwdSplitKVPipelineQRKSVSINS_34BlockFmhaFwdSplitKVPipelineProblemIDF16bDF16bDF16bffDF16bfDF16bffNS_13TileFmhaShapeINS_8sequenceIJLi64ELi64ELi32ELi64ELi32ELi64EEEENS6_IJLi4ELi1ELi1EEEENS6_IJLi16ELi16ELi16EEEES8_S9_Lb1EEELb0ENS_17ComposedAttentionILj4ELb1EEENS_30SimplifiedGenericAttentionMaskILb1EEENS_24TileFmhaFwdSplitKVTraitsILb1ELb0ELb0ELb0ELb1ELNS_22BlockAttentionBiasEnumE0ELb0ELb1ELb0ELb0ELb0ELb0ELin1ELb0EEEEENS_46BlockFmhaFwdSplitKVPipelineQRKSVSDefaultPolicyEEENS_17Default2DEpilogueINS_24Default2DEpilogueProblemIffLb0ELb0ELb1EEEvEEEEJNSP_14BatchModeKargsEEEENSt9enable_ifIXnt26kattr_no_packed_fp32_ops_vIT_EEvE4typeEDpT2_.has_dyn_sized_stack, 0
	.set _ZN7ck_tile6kentryINS_6gfx9_tELi3ENS_20FmhaFwdSplitKVKernelINS_33BlockFmhaFwdSplitKVPipelineQRKSVSINS_34BlockFmhaFwdSplitKVPipelineProblemIDF16bDF16bDF16bffDF16bfDF16bffNS_13TileFmhaShapeINS_8sequenceIJLi64ELi64ELi32ELi64ELi32ELi64EEEENS6_IJLi4ELi1ELi1EEEENS6_IJLi16ELi16ELi16EEEES8_S9_Lb1EEELb0ENS_17ComposedAttentionILj4ELb1EEENS_30SimplifiedGenericAttentionMaskILb1EEENS_24TileFmhaFwdSplitKVTraitsILb1ELb0ELb0ELb0ELb1ELNS_22BlockAttentionBiasEnumE0ELb0ELb1ELb0ELb0ELb0ELb0ELin1ELb0EEEEENS_46BlockFmhaFwdSplitKVPipelineQRKSVSDefaultPolicyEEENS_17Default2DEpilogueINS_24Default2DEpilogueProblemIffLb0ELb0ELb1EEEvEEEEJNSP_14BatchModeKargsEEEENSt9enable_ifIXnt26kattr_no_packed_fp32_ops_vIT_EEvE4typeEDpT2_.has_recursion, 0
	.set _ZN7ck_tile6kentryINS_6gfx9_tELi3ENS_20FmhaFwdSplitKVKernelINS_33BlockFmhaFwdSplitKVPipelineQRKSVSINS_34BlockFmhaFwdSplitKVPipelineProblemIDF16bDF16bDF16bffDF16bfDF16bffNS_13TileFmhaShapeINS_8sequenceIJLi64ELi64ELi32ELi64ELi32ELi64EEEENS6_IJLi4ELi1ELi1EEEENS6_IJLi16ELi16ELi16EEEES8_S9_Lb1EEELb0ENS_17ComposedAttentionILj4ELb1EEENS_30SimplifiedGenericAttentionMaskILb1EEENS_24TileFmhaFwdSplitKVTraitsILb1ELb0ELb0ELb0ELb1ELNS_22BlockAttentionBiasEnumE0ELb0ELb1ELb0ELb0ELb0ELb0ELin1ELb0EEEEENS_46BlockFmhaFwdSplitKVPipelineQRKSVSDefaultPolicyEEENS_17Default2DEpilogueINS_24Default2DEpilogueProblemIffLb0ELb0ELb1EEEvEEEEJNSP_14BatchModeKargsEEEENSt9enable_ifIXnt26kattr_no_packed_fp32_ops_vIT_EEvE4typeEDpT2_.has_indirect_call, 0
	.section	.AMDGPU.csdata,"",@progbits
; Kernel info:
; codeLenInByte = 5444
; TotalNumSgprs: 72
; NumVgprs: 89
; NumAgprs: 0
; TotalNumVgprs: 89
; ScratchSize: 0
; MemoryBound: 0
; FloatMode: 192
; IeeeMode: 1
; LDSByteSize: 4352 bytes/workgroup (compile time only)
; SGPRBlocks: 8
; VGPRBlocks: 11
; NumSGPRsForWavesPerEU: 72
; NumVGPRsForWavesPerEU: 89
; AccumOffset: 92
; Occupancy: 5
; WaveLimiterHint : 1
; COMPUTE_PGM_RSRC2:SCRATCH_EN: 0
; COMPUTE_PGM_RSRC2:USER_SGPR: 2
; COMPUTE_PGM_RSRC2:TRAP_HANDLER: 0
; COMPUTE_PGM_RSRC2:TGID_X_EN: 1
; COMPUTE_PGM_RSRC2:TGID_Y_EN: 1
; COMPUTE_PGM_RSRC2:TGID_Z_EN: 1
; COMPUTE_PGM_RSRC2:TIDIG_COMP_CNT: 0
; COMPUTE_PGM_RSRC3_GFX90A:ACCUM_OFFSET: 22
; COMPUTE_PGM_RSRC3_GFX90A:TG_SPLIT: 0
	.section	.AMDGPU.gpr_maximums,"",@progbits
	.set amdgpu.max_num_vgpr, 0
	.set amdgpu.max_num_agpr, 0
	.set amdgpu.max_num_sgpr, 0
	.section	.AMDGPU.csdata,"",@progbits
	.type	__hip_cuid_a433c41aeffa2afc,@object ; @__hip_cuid_a433c41aeffa2afc
	.section	.bss,"aw",@nobits
	.globl	__hip_cuid_a433c41aeffa2afc
__hip_cuid_a433c41aeffa2afc:
	.byte	0                               ; 0x0
	.size	__hip_cuid_a433c41aeffa2afc, 1

	.ident	"AMD clang version 22.0.0git (https://github.com/RadeonOpenCompute/llvm-project roc-7.2.4 26084 f58b06dce1f9c15707c5f808fd002e18c2accf7e)"
	.section	".note.GNU-stack","",@progbits
	.addrsig
	.addrsig_sym __hip_cuid_a433c41aeffa2afc
	.amdgpu_metadata
---
amdhsa.kernels:
  - .agpr_count:     0
    .args:           []
    .group_segment_fixed_size: 0
    .kernarg_segment_align: 4
    .kernarg_segment_size: 0
    .language:       OpenCL C
    .language_version:
      - 2
      - 0
    .max_flat_workgroup_size: 1024
    .name:           _ZN7ck_tileL11flush_cacheEv
    .private_segment_fixed_size: 0
    .sgpr_count:     6
    .sgpr_spill_count: 0
    .symbol:         _ZN7ck_tileL11flush_cacheEv.kd
    .uses_dynamic_stack: false
    .vgpr_count:     0
    .vgpr_spill_count: 0
    .wavefront_size: 64
  - .agpr_count:     0
    .args:
      - .offset:         0
        .size:           192
        .value_kind:     by_value
      - .offset:         192
        .size:           4
        .value_kind:     hidden_block_count_x
      - .offset:         196
        .size:           4
        .value_kind:     hidden_block_count_y
      - .offset:         200
        .size:           4
        .value_kind:     hidden_block_count_z
      - .offset:         204
        .size:           2
        .value_kind:     hidden_group_size_x
      - .offset:         206
        .size:           2
        .value_kind:     hidden_group_size_y
      - .offset:         208
        .size:           2
        .value_kind:     hidden_group_size_z
      - .offset:         210
        .size:           2
        .value_kind:     hidden_remainder_x
      - .offset:         212
        .size:           2
        .value_kind:     hidden_remainder_y
      - .offset:         214
        .size:           2
        .value_kind:     hidden_remainder_z
      - .offset:         232
        .size:           8
        .value_kind:     hidden_global_offset_x
      - .offset:         240
        .size:           8
        .value_kind:     hidden_global_offset_y
      - .offset:         248
        .size:           8
        .value_kind:     hidden_global_offset_z
      - .offset:         256
        .size:           2
        .value_kind:     hidden_grid_dims
    .group_segment_fixed_size: 4352
    .kernarg_segment_align: 8
    .kernarg_segment_size: 448
    .language:       OpenCL C
    .language_version:
      - 2
      - 0
    .max_flat_workgroup_size: 256
    .name:           _ZN7ck_tile6kentryINS_6gfx9_tELi3ENS_20FmhaFwdSplitKVKernelINS_33BlockFmhaFwdSplitKVPipelineQRKSVSINS_34BlockFmhaFwdSplitKVPipelineProblemIDF16bDF16bDF16bffDF16bfDF16bffNS_13TileFmhaShapeINS_8sequenceIJLi64ELi64ELi32ELi64ELi32ELi64EEEENS6_IJLi4ELi1ELi1EEEENS6_IJLi16ELi16ELi16EEEES8_S9_Lb1EEELb0ENS_17ComposedAttentionILj4ELb1EEENS_30SimplifiedGenericAttentionMaskILb1EEENS_24TileFmhaFwdSplitKVTraitsILb1ELb0ELb0ELb0ELb1ELNS_22BlockAttentionBiasEnumE0ELb0ELb1ELb0ELb0ELb1ELb0ELin1ELb0EEEEENS_46BlockFmhaFwdSplitKVPipelineQRKSVSDefaultPolicyEEENS_17Default2DEpilogueINS_24Default2DEpilogueProblemIffLb0ELb0ELb1EEEvEEEEJNSP_14BatchModeKargsEEEENSt9enable_ifIXnt26kattr_no_packed_fp32_ops_vIT_EEvE4typeEDpT2_
    .private_segment_fixed_size: 0
    .sgpr_count:     72
    .sgpr_spill_count: 0
    .symbol:         _ZN7ck_tile6kentryINS_6gfx9_tELi3ENS_20FmhaFwdSplitKVKernelINS_33BlockFmhaFwdSplitKVPipelineQRKSVSINS_34BlockFmhaFwdSplitKVPipelineProblemIDF16bDF16bDF16bffDF16bfDF16bffNS_13TileFmhaShapeINS_8sequenceIJLi64ELi64ELi32ELi64ELi32ELi64EEEENS6_IJLi4ELi1ELi1EEEENS6_IJLi16ELi16ELi16EEEES8_S9_Lb1EEELb0ENS_17ComposedAttentionILj4ELb1EEENS_30SimplifiedGenericAttentionMaskILb1EEENS_24TileFmhaFwdSplitKVTraitsILb1ELb0ELb0ELb0ELb1ELNS_22BlockAttentionBiasEnumE0ELb0ELb1ELb0ELb0ELb1ELb0ELin1ELb0EEEEENS_46BlockFmhaFwdSplitKVPipelineQRKSVSDefaultPolicyEEENS_17Default2DEpilogueINS_24Default2DEpilogueProblemIffLb0ELb0ELb1EEEvEEEEJNSP_14BatchModeKargsEEEENSt9enable_ifIXnt26kattr_no_packed_fp32_ops_vIT_EEvE4typeEDpT2_.kd
    .uses_dynamic_stack: false
    .vgpr_count:     94
    .vgpr_spill_count: 0
    .wavefront_size: 64
  - .agpr_count:     0
    .args:
      - .offset:         0
        .size:           192
        .value_kind:     by_value
      - .offset:         192
        .size:           4
        .value_kind:     hidden_block_count_x
      - .offset:         196
        .size:           4
        .value_kind:     hidden_block_count_y
      - .offset:         200
        .size:           4
        .value_kind:     hidden_block_count_z
      - .offset:         204
        .size:           2
        .value_kind:     hidden_group_size_x
      - .offset:         206
        .size:           2
        .value_kind:     hidden_group_size_y
      - .offset:         208
        .size:           2
        .value_kind:     hidden_group_size_z
      - .offset:         210
        .size:           2
        .value_kind:     hidden_remainder_x
      - .offset:         212
        .size:           2
        .value_kind:     hidden_remainder_y
      - .offset:         214
        .size:           2
        .value_kind:     hidden_remainder_z
      - .offset:         232
        .size:           8
        .value_kind:     hidden_global_offset_x
      - .offset:         240
        .size:           8
        .value_kind:     hidden_global_offset_y
      - .offset:         248
        .size:           8
        .value_kind:     hidden_global_offset_z
      - .offset:         256
        .size:           2
        .value_kind:     hidden_grid_dims
    .group_segment_fixed_size: 4352
    .kernarg_segment_align: 8
    .kernarg_segment_size: 448
    .language:       OpenCL C
    .language_version:
      - 2
      - 0
    .max_flat_workgroup_size: 256
    .name:           _ZN7ck_tile6kentryINS_6gfx9_tELi3ENS_20FmhaFwdSplitKVKernelINS_33BlockFmhaFwdSplitKVPipelineQRKSVSINS_34BlockFmhaFwdSplitKVPipelineProblemIDF16bDF16bDF16bffDF16bfDF16bffNS_13TileFmhaShapeINS_8sequenceIJLi64ELi64ELi32ELi64ELi32ELi64EEEENS6_IJLi4ELi1ELi1EEEENS6_IJLi16ELi16ELi16EEEES8_S9_Lb1EEELb0ENS_17ComposedAttentionILj4ELb1EEENS_30SimplifiedGenericAttentionMaskILb1EEENS_24TileFmhaFwdSplitKVTraitsILb1ELb0ELb0ELb0ELb1ELNS_22BlockAttentionBiasEnumE0ELb0ELb1ELb0ELb0ELb0ELb0ELin1ELb0EEEEENS_46BlockFmhaFwdSplitKVPipelineQRKSVSDefaultPolicyEEENS_17Default2DEpilogueINS_24Default2DEpilogueProblemIffLb0ELb0ELb1EEEvEEEEJNSP_14BatchModeKargsEEEENSt9enable_ifIXnt26kattr_no_packed_fp32_ops_vIT_EEvE4typeEDpT2_
    .private_segment_fixed_size: 0
    .sgpr_count:     72
    .sgpr_spill_count: 0
    .symbol:         _ZN7ck_tile6kentryINS_6gfx9_tELi3ENS_20FmhaFwdSplitKVKernelINS_33BlockFmhaFwdSplitKVPipelineQRKSVSINS_34BlockFmhaFwdSplitKVPipelineProblemIDF16bDF16bDF16bffDF16bfDF16bffNS_13TileFmhaShapeINS_8sequenceIJLi64ELi64ELi32ELi64ELi32ELi64EEEENS6_IJLi4ELi1ELi1EEEENS6_IJLi16ELi16ELi16EEEES8_S9_Lb1EEELb0ENS_17ComposedAttentionILj4ELb1EEENS_30SimplifiedGenericAttentionMaskILb1EEENS_24TileFmhaFwdSplitKVTraitsILb1ELb0ELb0ELb0ELb1ELNS_22BlockAttentionBiasEnumE0ELb0ELb1ELb0ELb0ELb0ELb0ELin1ELb0EEEEENS_46BlockFmhaFwdSplitKVPipelineQRKSVSDefaultPolicyEEENS_17Default2DEpilogueINS_24Default2DEpilogueProblemIffLb0ELb0ELb1EEEvEEEEJNSP_14BatchModeKargsEEEENSt9enable_ifIXnt26kattr_no_packed_fp32_ops_vIT_EEvE4typeEDpT2_.kd
    .uses_dynamic_stack: false
    .vgpr_count:     89
    .vgpr_spill_count: 0
    .wavefront_size: 64
amdhsa.target:   amdgcn-amd-amdhsa--gfx950
amdhsa.version:
  - 1
  - 2
...

	.end_amdgpu_metadata
